;; amdgpu-corpus repo=ROCm/rocFFT kind=compiled arch=gfx1201 opt=O3
	.text
	.amdgcn_target "amdgcn-amd-amdhsa--gfx1201"
	.amdhsa_code_object_version 6
	.protected	fft_rtc_fwd_len840_factors_2_2_2_3_5_7_wgs_56_tpt_56_halfLds_half_ip_CI_unitstride_sbrr_R2C_dirReg ; -- Begin function fft_rtc_fwd_len840_factors_2_2_2_3_5_7_wgs_56_tpt_56_halfLds_half_ip_CI_unitstride_sbrr_R2C_dirReg
	.globl	fft_rtc_fwd_len840_factors_2_2_2_3_5_7_wgs_56_tpt_56_halfLds_half_ip_CI_unitstride_sbrr_R2C_dirReg
	.p2align	8
	.type	fft_rtc_fwd_len840_factors_2_2_2_3_5_7_wgs_56_tpt_56_halfLds_half_ip_CI_unitstride_sbrr_R2C_dirReg,@function
fft_rtc_fwd_len840_factors_2_2_2_3_5_7_wgs_56_tpt_56_halfLds_half_ip_CI_unitstride_sbrr_R2C_dirReg: ; @fft_rtc_fwd_len840_factors_2_2_2_3_5_7_wgs_56_tpt_56_halfLds_half_ip_CI_unitstride_sbrr_R2C_dirReg
; %bb.0:
	s_clause 0x2
	s_load_b128 s[4:7], s[0:1], 0x0
	s_load_b64 s[8:9], s[0:1], 0x50
	s_load_b64 s[10:11], s[0:1], 0x18
	v_mul_u32_u24_e32 v1, 0x493, v0
	v_mov_b32_e32 v3, 0
	s_delay_alu instid0(VALU_DEP_2) | instskip(NEXT) | instid1(VALU_DEP_1)
	v_lshrrev_b32_e32 v1, 16, v1
	v_add_nc_u32_e32 v5, ttmp9, v1
	v_mov_b32_e32 v1, 0
	v_mov_b32_e32 v2, 0
	;; [unrolled: 1-line block ×3, first 2 shown]
	s_wait_kmcnt 0x0
	v_cmp_lt_u64_e64 s2, s[6:7], 2
	s_delay_alu instid0(VALU_DEP_1)
	s_and_b32 vcc_lo, exec_lo, s2
	s_cbranch_vccnz .LBB0_8
; %bb.1:
	s_load_b64 s[2:3], s[0:1], 0x10
	v_mov_b32_e32 v1, 0
	v_mov_b32_e32 v2, 0
	s_add_nc_u64 s[12:13], s[10:11], 8
	s_mov_b64 s[14:15], 1
	s_wait_kmcnt 0x0
	s_add_nc_u64 s[16:17], s[2:3], 8
	s_mov_b32 s3, 0
.LBB0_2:                                ; =>This Inner Loop Header: Depth=1
	s_load_b64 s[18:19], s[16:17], 0x0
                                        ; implicit-def: $vgpr12_vgpr13
	s_mov_b32 s2, exec_lo
	s_wait_kmcnt 0x0
	v_or_b32_e32 v4, s19, v6
	s_delay_alu instid0(VALU_DEP_1)
	v_cmpx_ne_u64_e32 0, v[3:4]
	s_wait_alu 0xfffe
	s_xor_b32 s20, exec_lo, s2
	s_cbranch_execz .LBB0_4
; %bb.3:                                ;   in Loop: Header=BB0_2 Depth=1
	s_cvt_f32_u32 s2, s18
	s_cvt_f32_u32 s21, s19
	s_sub_nc_u64 s[24:25], 0, s[18:19]
	s_wait_alu 0xfffe
	s_delay_alu instid0(SALU_CYCLE_1) | instskip(SKIP_1) | instid1(SALU_CYCLE_2)
	s_fmamk_f32 s2, s21, 0x4f800000, s2
	s_wait_alu 0xfffe
	v_s_rcp_f32 s2, s2
	s_delay_alu instid0(TRANS32_DEP_1) | instskip(SKIP_1) | instid1(SALU_CYCLE_2)
	s_mul_f32 s2, s2, 0x5f7ffffc
	s_wait_alu 0xfffe
	s_mul_f32 s21, s2, 0x2f800000
	s_wait_alu 0xfffe
	s_delay_alu instid0(SALU_CYCLE_2) | instskip(SKIP_1) | instid1(SALU_CYCLE_2)
	s_trunc_f32 s21, s21
	s_wait_alu 0xfffe
	s_fmamk_f32 s2, s21, 0xcf800000, s2
	s_cvt_u32_f32 s23, s21
	s_wait_alu 0xfffe
	s_delay_alu instid0(SALU_CYCLE_1) | instskip(SKIP_1) | instid1(SALU_CYCLE_2)
	s_cvt_u32_f32 s22, s2
	s_wait_alu 0xfffe
	s_mul_u64 s[26:27], s[24:25], s[22:23]
	s_wait_alu 0xfffe
	s_mul_hi_u32 s29, s22, s27
	s_mul_i32 s28, s22, s27
	s_mul_hi_u32 s2, s22, s26
	s_mul_i32 s30, s23, s26
	s_wait_alu 0xfffe
	s_add_nc_u64 s[28:29], s[2:3], s[28:29]
	s_mul_hi_u32 s21, s23, s26
	s_mul_hi_u32 s31, s23, s27
	s_add_co_u32 s2, s28, s30
	s_wait_alu 0xfffe
	s_add_co_ci_u32 s2, s29, s21
	s_mul_i32 s26, s23, s27
	s_add_co_ci_u32 s27, s31, 0
	s_wait_alu 0xfffe
	s_add_nc_u64 s[26:27], s[2:3], s[26:27]
	s_wait_alu 0xfffe
	v_add_co_u32 v4, s2, s22, s26
	s_delay_alu instid0(VALU_DEP_1) | instskip(SKIP_1) | instid1(VALU_DEP_1)
	s_cmp_lg_u32 s2, 0
	s_add_co_ci_u32 s23, s23, s27
	v_readfirstlane_b32 s22, v4
	s_wait_alu 0xfffe
	s_delay_alu instid0(VALU_DEP_1)
	s_mul_u64 s[24:25], s[24:25], s[22:23]
	s_wait_alu 0xfffe
	s_mul_hi_u32 s27, s22, s25
	s_mul_i32 s26, s22, s25
	s_mul_hi_u32 s2, s22, s24
	s_mul_i32 s28, s23, s24
	s_wait_alu 0xfffe
	s_add_nc_u64 s[26:27], s[2:3], s[26:27]
	s_mul_hi_u32 s21, s23, s24
	s_mul_hi_u32 s22, s23, s25
	s_wait_alu 0xfffe
	s_add_co_u32 s2, s26, s28
	s_add_co_ci_u32 s2, s27, s21
	s_mul_i32 s24, s23, s25
	s_add_co_ci_u32 s25, s22, 0
	s_wait_alu 0xfffe
	s_add_nc_u64 s[24:25], s[2:3], s[24:25]
	s_wait_alu 0xfffe
	v_add_co_u32 v4, s2, v4, s24
	s_delay_alu instid0(VALU_DEP_1) | instskip(SKIP_1) | instid1(VALU_DEP_1)
	s_cmp_lg_u32 s2, 0
	s_add_co_ci_u32 s2, s23, s25
	v_mul_hi_u32 v13, v5, v4
	s_wait_alu 0xfffe
	v_mad_co_u64_u32 v[7:8], null, v5, s2, 0
	v_mad_co_u64_u32 v[9:10], null, v6, v4, 0
	;; [unrolled: 1-line block ×3, first 2 shown]
	s_delay_alu instid0(VALU_DEP_3) | instskip(SKIP_1) | instid1(VALU_DEP_4)
	v_add_co_u32 v4, vcc_lo, v13, v7
	s_wait_alu 0xfffd
	v_add_co_ci_u32_e32 v7, vcc_lo, 0, v8, vcc_lo
	s_delay_alu instid0(VALU_DEP_2) | instskip(SKIP_1) | instid1(VALU_DEP_2)
	v_add_co_u32 v4, vcc_lo, v4, v9
	s_wait_alu 0xfffd
	v_add_co_ci_u32_e32 v4, vcc_lo, v7, v10, vcc_lo
	s_wait_alu 0xfffd
	v_add_co_ci_u32_e32 v7, vcc_lo, 0, v12, vcc_lo
	s_delay_alu instid0(VALU_DEP_2) | instskip(SKIP_1) | instid1(VALU_DEP_2)
	v_add_co_u32 v4, vcc_lo, v4, v11
	s_wait_alu 0xfffd
	v_add_co_ci_u32_e32 v9, vcc_lo, 0, v7, vcc_lo
	s_delay_alu instid0(VALU_DEP_2) | instskip(SKIP_1) | instid1(VALU_DEP_3)
	v_mul_lo_u32 v10, s19, v4
	v_mad_co_u64_u32 v[7:8], null, s18, v4, 0
	v_mul_lo_u32 v11, s18, v9
	s_delay_alu instid0(VALU_DEP_2) | instskip(NEXT) | instid1(VALU_DEP_2)
	v_sub_co_u32 v7, vcc_lo, v5, v7
	v_add3_u32 v8, v8, v11, v10
	s_delay_alu instid0(VALU_DEP_1) | instskip(SKIP_1) | instid1(VALU_DEP_1)
	v_sub_nc_u32_e32 v10, v6, v8
	s_wait_alu 0xfffd
	v_subrev_co_ci_u32_e64 v10, s2, s19, v10, vcc_lo
	v_add_co_u32 v11, s2, v4, 2
	s_wait_alu 0xf1ff
	v_add_co_ci_u32_e64 v12, s2, 0, v9, s2
	v_sub_co_u32 v13, s2, v7, s18
	v_sub_co_ci_u32_e32 v8, vcc_lo, v6, v8, vcc_lo
	s_wait_alu 0xf1ff
	v_subrev_co_ci_u32_e64 v10, s2, 0, v10, s2
	s_delay_alu instid0(VALU_DEP_3) | instskip(NEXT) | instid1(VALU_DEP_3)
	v_cmp_le_u32_e32 vcc_lo, s18, v13
	v_cmp_eq_u32_e64 s2, s19, v8
	s_wait_alu 0xfffd
	v_cndmask_b32_e64 v13, 0, -1, vcc_lo
	v_cmp_le_u32_e32 vcc_lo, s19, v10
	s_wait_alu 0xfffd
	v_cndmask_b32_e64 v14, 0, -1, vcc_lo
	v_cmp_le_u32_e32 vcc_lo, s18, v7
	;; [unrolled: 3-line block ×3, first 2 shown]
	s_wait_alu 0xfffd
	v_cndmask_b32_e64 v15, 0, -1, vcc_lo
	v_cmp_eq_u32_e32 vcc_lo, s19, v10
	s_wait_alu 0xf1ff
	s_delay_alu instid0(VALU_DEP_2)
	v_cndmask_b32_e64 v7, v15, v7, s2
	s_wait_alu 0xfffd
	v_cndmask_b32_e32 v10, v14, v13, vcc_lo
	v_add_co_u32 v13, vcc_lo, v4, 1
	s_wait_alu 0xfffd
	v_add_co_ci_u32_e32 v14, vcc_lo, 0, v9, vcc_lo
	s_delay_alu instid0(VALU_DEP_3) | instskip(SKIP_1) | instid1(VALU_DEP_2)
	v_cmp_ne_u32_e32 vcc_lo, 0, v10
	s_wait_alu 0xfffd
	v_cndmask_b32_e32 v8, v14, v12, vcc_lo
	v_cndmask_b32_e32 v10, v13, v11, vcc_lo
	v_cmp_ne_u32_e32 vcc_lo, 0, v7
	s_wait_alu 0xfffd
	s_delay_alu instid0(VALU_DEP_2)
	v_dual_cndmask_b32 v13, v9, v8 :: v_dual_cndmask_b32 v12, v4, v10
.LBB0_4:                                ;   in Loop: Header=BB0_2 Depth=1
	s_wait_alu 0xfffe
	s_and_not1_saveexec_b32 s2, s20
	s_cbranch_execz .LBB0_6
; %bb.5:                                ;   in Loop: Header=BB0_2 Depth=1
	v_cvt_f32_u32_e32 v4, s18
	s_sub_co_i32 s20, 0, s18
	v_mov_b32_e32 v13, v3
	s_delay_alu instid0(VALU_DEP_2) | instskip(NEXT) | instid1(TRANS32_DEP_1)
	v_rcp_iflag_f32_e32 v4, v4
	v_mul_f32_e32 v4, 0x4f7ffffe, v4
	s_delay_alu instid0(VALU_DEP_1) | instskip(SKIP_1) | instid1(VALU_DEP_1)
	v_cvt_u32_f32_e32 v4, v4
	s_wait_alu 0xfffe
	v_mul_lo_u32 v7, s20, v4
	s_delay_alu instid0(VALU_DEP_1) | instskip(NEXT) | instid1(VALU_DEP_1)
	v_mul_hi_u32 v7, v4, v7
	v_add_nc_u32_e32 v4, v4, v7
	s_delay_alu instid0(VALU_DEP_1) | instskip(NEXT) | instid1(VALU_DEP_1)
	v_mul_hi_u32 v4, v5, v4
	v_mul_lo_u32 v7, v4, s18
	v_add_nc_u32_e32 v8, 1, v4
	s_delay_alu instid0(VALU_DEP_2) | instskip(NEXT) | instid1(VALU_DEP_1)
	v_sub_nc_u32_e32 v7, v5, v7
	v_subrev_nc_u32_e32 v9, s18, v7
	v_cmp_le_u32_e32 vcc_lo, s18, v7
	s_wait_alu 0xfffd
	s_delay_alu instid0(VALU_DEP_2) | instskip(NEXT) | instid1(VALU_DEP_1)
	v_dual_cndmask_b32 v7, v7, v9 :: v_dual_cndmask_b32 v4, v4, v8
	v_cmp_le_u32_e32 vcc_lo, s18, v7
	s_delay_alu instid0(VALU_DEP_2) | instskip(SKIP_1) | instid1(VALU_DEP_1)
	v_add_nc_u32_e32 v8, 1, v4
	s_wait_alu 0xfffd
	v_cndmask_b32_e32 v12, v4, v8, vcc_lo
.LBB0_6:                                ;   in Loop: Header=BB0_2 Depth=1
	s_wait_alu 0xfffe
	s_or_b32 exec_lo, exec_lo, s2
	s_load_b64 s[20:21], s[12:13], 0x0
	v_mul_lo_u32 v4, v13, s18
	v_mul_lo_u32 v9, v12, s19
	v_mad_co_u64_u32 v[7:8], null, v12, s18, 0
	s_add_nc_u64 s[14:15], s[14:15], 1
	s_add_nc_u64 s[12:13], s[12:13], 8
	s_wait_alu 0xfffe
	v_cmp_ge_u64_e64 s2, s[14:15], s[6:7]
	s_add_nc_u64 s[16:17], s[16:17], 8
	s_delay_alu instid0(VALU_DEP_2) | instskip(NEXT) | instid1(VALU_DEP_3)
	v_add3_u32 v4, v8, v9, v4
	v_sub_co_u32 v5, vcc_lo, v5, v7
	s_wait_alu 0xfffd
	s_delay_alu instid0(VALU_DEP_2) | instskip(SKIP_3) | instid1(VALU_DEP_2)
	v_sub_co_ci_u32_e32 v4, vcc_lo, v6, v4, vcc_lo
	s_and_b32 vcc_lo, exec_lo, s2
	s_wait_kmcnt 0x0
	v_mul_lo_u32 v6, s21, v5
	v_mul_lo_u32 v4, s20, v4
	v_mad_co_u64_u32 v[1:2], null, s20, v5, v[1:2]
	s_delay_alu instid0(VALU_DEP_1)
	v_add3_u32 v2, v6, v2, v4
	s_wait_alu 0xfffe
	s_cbranch_vccnz .LBB0_9
; %bb.7:                                ;   in Loop: Header=BB0_2 Depth=1
	v_dual_mov_b32 v5, v12 :: v_dual_mov_b32 v6, v13
	s_branch .LBB0_2
.LBB0_8:
	v_dual_mov_b32 v13, v6 :: v_dual_mov_b32 v12, v5
.LBB0_9:
	s_lshl_b64 s[2:3], s[6:7], 3
	v_mul_hi_u32 v3, 0x4924925, v0
	s_wait_alu 0xfffe
	s_add_nc_u64 s[2:3], s[10:11], s[2:3]
	s_load_b64 s[0:1], s[0:1], 0x20
	s_load_b64 s[2:3], s[2:3], 0x0
	s_delay_alu instid0(VALU_DEP_1) | instskip(NEXT) | instid1(VALU_DEP_1)
	v_mul_u32_u24_e32 v3, 56, v3
	v_sub_nc_u32_e32 v0, v0, v3
	s_delay_alu instid0(VALU_DEP_1)
	v_add_nc_u32_e32 v4, 56, v0
	v_add_nc_u32_e32 v11, 0x70, v0
	;; [unrolled: 1-line block ×4, first 2 shown]
	s_wait_kmcnt 0x0
	v_cmp_gt_u64_e32 vcc_lo, s[0:1], v[12:13]
	v_mul_lo_u32 v3, s2, v13
	v_mul_lo_u32 v5, s3, v12
	v_mad_co_u64_u32 v[1:2], null, s2, v12, v[1:2]
	v_cmp_le_u64_e64 s0, s[0:1], v[12:13]
	v_add_nc_u32_e32 v8, 0x118, v0
	v_add_nc_u32_e32 v7, 0x150, v0
	;; [unrolled: 1-line block ×3, first 2 shown]
	v_add3_u32 v2, v5, v2, v3
	s_and_saveexec_b32 s1, s0
	s_wait_alu 0xfffe
	s_xor_b32 s0, exec_lo, s1
; %bb.10:
	v_add_nc_u32_e32 v4, 56, v0
	v_add_nc_u32_e32 v11, 0x70, v0
	;; [unrolled: 1-line block ×7, first 2 shown]
; %bb.11:
	s_wait_alu 0xfffe
	s_or_saveexec_b32 s1, s0
	v_lshlrev_b64_e32 v[2:3], 2, v[1:2]
	s_wait_alu 0xfffe
	s_xor_b32 exec_lo, exec_lo, s1
	s_cbranch_execz .LBB0_13
; %bb.12:
	v_mov_b32_e32 v1, 0
	s_delay_alu instid0(VALU_DEP_1) | instskip(SKIP_3) | instid1(VALU_DEP_2)
	v_lshlrev_b64_e32 v[12:13], 2, v[0:1]
	v_add_co_u32 v1, s0, s8, v2
	s_wait_alu 0xf1ff
	v_add_co_ci_u32_e64 v5, s0, s9, v3, s0
	v_add_co_u32 v12, s0, v1, v12
	s_wait_alu 0xf1ff
	s_delay_alu instid0(VALU_DEP_2)
	v_add_co_ci_u32_e64 v13, s0, v5, v13, s0
	s_clause 0xe
	global_load_b32 v1, v[12:13], off
	global_load_b32 v5, v[12:13], off offset:224
	global_load_b32 v14, v[12:13], off offset:448
	;; [unrolled: 1-line block ×14, first 2 shown]
	v_lshl_add_u32 v13, v0, 2, 0
	s_delay_alu instid0(VALU_DEP_1)
	v_add_nc_u32_e32 v26, 0x200, v13
	v_add_nc_u32_e32 v27, 0x400, v13
	;; [unrolled: 1-line block ×3, first 2 shown]
	s_wait_loadcnt 0xd
	ds_store_2addr_b32 v13, v1, v5 offset1:56
	s_wait_loadcnt 0xb
	ds_store_2addr_b32 v13, v14, v15 offset0:112 offset1:168
	s_wait_loadcnt 0x9
	ds_store_2addr_b32 v26, v16, v17 offset0:96 offset1:152
	;; [unrolled: 2-line block ×6, first 2 shown]
	s_wait_loadcnt 0x0
	ds_store_b32 v13, v12 offset:3136
.LBB0_13:
	s_or_b32 exec_lo, exec_lo, s1
	v_lshlrev_b32_e32 v1, 2, v0
	global_wb scope:SCOPE_SE
	s_wait_dscnt 0x0
	s_barrier_signal -1
	s_barrier_wait -1
	global_inv scope:SCOPE_SE
	v_add_nc_u32_e32 v32, 0, v1
	v_lshl_add_u32 v21, v4, 3, 0
	v_lshl_add_u32 v22, v11, 3, 0
	;; [unrolled: 1-line block ×4, first 2 shown]
	v_add_nc_u32_e32 v12, 0x400, v32
	v_add_nc_u32_e32 v5, 0xa00, v32
	;; [unrolled: 1-line block ×4, first 2 shown]
	v_lshl_add_u32 v18, v8, 3, 0
	ds_load_2addr_b32 v[13:14], v12 offset0:80 offset1:136
	ds_load_2addr_b32 v[23:24], v5 offset0:116 offset1:172
	;; [unrolled: 1-line block ×6, first 2 shown]
	ds_load_2addr_b32 v[35:36], v32 offset1:56
	ds_load_2addr_b32 v[37:38], v12 offset0:164 offset1:220
	v_lshl_add_u32 v5, v7, 3, 0
	v_add_nc_u32_e32 v15, v32, v1
	v_cmp_gt_u32_e64 s0, 28, v0
	global_wb scope:SCOPE_SE
	s_wait_dscnt 0x0
	s_barrier_signal -1
	s_barrier_wait -1
	global_inv scope:SCOPE_SE
	v_pk_add_f16 v31, v14, v24 neg_lo:[0,1] neg_hi:[0,1]
	v_pk_add_f16 v17, v13, v23 neg_lo:[0,1] neg_hi:[0,1]
	;; [unrolled: 1-line block ×8, first 2 shown]
	v_pk_fma_f16 v30, v14, 2.0, v31 op_sel_hi:[1,0,1] neg_lo:[0,0,1] neg_hi:[0,0,1]
	v_pk_fma_f16 v14, v26, 2.0, v23 op_sel_hi:[1,0,1] neg_lo:[0,0,1] neg_hi:[0,0,1]
	;; [unrolled: 1-line block ×8, first 2 shown]
	ds_store_2addr_b32 v15, v26, v29 offset1:1
	ds_store_2addr_b32 v21, v35, v37 offset1:1
	;; [unrolled: 1-line block ×7, first 2 shown]
	s_and_saveexec_b32 s1, s0
	s_cbranch_execz .LBB0_15
; %bb.14:
	v_lshl_add_u32 v13, v6, 3, 0
	ds_store_2addr_b32 v13, v30, v31 offset1:1
.LBB0_15:
	s_wait_alu 0xfffe
	s_or_b32 exec_lo, exec_lo, s1
	v_lshlrev_b32_e32 v40, 2, v11
	v_lshlrev_b32_e32 v44, 2, v10
	;; [unrolled: 1-line block ×6, first 2 shown]
	v_sub_nc_u32_e32 v24, v22, v40
	v_sub_nc_u32_e32 v25, v20, v44
	;; [unrolled: 1-line block ×5, first 2 shown]
	global_wb scope:SCOPE_SE
	s_wait_dscnt 0x0
	s_barrier_signal -1
	s_barrier_wait -1
	global_inv scope:SCOPE_SE
	ds_load_b32 v34, v32
	ds_load_2addr_b32 v[12:13], v12 offset0:164 offset1:220
	v_sub_nc_u32_e32 v23, v21, v29
	ds_load_2addr_b32 v[14:15], v16 offset0:20 offset1:76
	ds_load_2addr_b32 v[16:17], v16 offset0:132 offset1:188
	ds_load_b32 v35, v24
	ds_load_b32 v36, v25
	;; [unrolled: 1-line block ×6, first 2 shown]
	ds_load_b32 v42, v32 offset:3024
	v_lshlrev_b32_e32 v23, 1, v4
	v_lshlrev_b32_e32 v24, 1, v11
	;; [unrolled: 1-line block ×6, first 2 shown]
	v_lshrrev_b32_e32 v41, 16, v31
	v_lshl_add_u32 v33, v6, 2, 0
	s_and_saveexec_b32 s1, s0
	s_cbranch_execz .LBB0_17
; %bb.16:
	ds_load_b32 v31, v32 offset:3248
	ds_load_b32 v30, v33
	s_wait_dscnt 0x1
	v_lshrrev_b32_e32 v41, 16, v31
.LBB0_17:
	s_wait_alu 0xfffe
	s_or_b32 exec_lo, exec_lo, s1
	v_and_b32_e32 v50, 1, v0
	v_sub_nc_u32_e32 v49, 0, v40
	v_lshlrev_b32_e32 v40, 1, v0
	v_sub_nc_u32_e32 v47, 0, v44
	v_sub_nc_u32_e32 v44, 0, v52
	v_lshlrev_b32_e32 v46, 2, v50
	v_and_or_b32 v54, 0xfc, v23, v50
	v_and_or_b32 v52, 0x7c, v40, v50
	;; [unrolled: 1-line block ×4, first 2 shown]
	global_load_b32 v53, v46, s[4:5]
	v_sub_nc_u32_e32 v46, 0, v45
	v_sub_nc_u32_e32 v45, 0, v51
	s_wait_dscnt 0x0
	v_lshrrev_b32_e32 v51, 16, v30
	v_and_or_b32 v57, 0x3fc, v26, v50
	v_sub_nc_u32_e32 v48, 0, v29
	v_lshlrev_b32_e32 v29, 1, v6
	v_and_or_b32 v58, 0x2fc, v27, v50
	v_and_or_b32 v59, 0x3fc, v28, v50
	v_lshl_add_u32 v52, v52, 2, 0
	v_lshl_add_u32 v54, v54, 2, 0
	;; [unrolled: 1-line block ×7, first 2 shown]
	global_wb scope:SCOPE_SE
	s_wait_loadcnt 0x0
	s_barrier_signal -1
	s_barrier_wait -1
	global_inv scope:SCOPE_SE
	v_pk_mul_f16 v60, v53, v42 op_sel:[0,1]
	v_lshrrev_b32_e32 v61, 16, v53
	v_pk_mul_f16 v62, v53, v12 op_sel:[0,1]
	v_pk_mul_f16 v63, v53, v13 op_sel:[0,1]
	;; [unrolled: 1-line block ×6, first 2 shown]
	v_pk_fma_f16 v68, v53, v42, v60 op_sel:[0,0,1] op_sel_hi:[1,1,0] neg_lo:[0,0,1] neg_hi:[0,0,1]
	v_pk_fma_f16 v42, v53, v42, v60 op_sel:[0,0,1] op_sel_hi:[1,0,0]
	v_mul_f16_e32 v60, v41, v61
	v_mul_f16_e32 v61, v31, v61
	v_pk_fma_f16 v69, v53, v12, v62 op_sel:[0,0,1] op_sel_hi:[1,1,0] neg_lo:[0,0,1] neg_hi:[0,0,1]
	v_pk_fma_f16 v12, v53, v12, v62 op_sel:[0,0,1] op_sel_hi:[1,0,0]
	v_pk_fma_f16 v62, v53, v13, v63 op_sel:[0,0,1] op_sel_hi:[1,1,0] neg_lo:[0,0,1] neg_hi:[0,0,1]
	v_pk_fma_f16 v13, v53, v13, v63 op_sel:[0,0,1] op_sel_hi:[1,0,0]
	;; [unrolled: 2-line block ×6, first 2 shown]
	v_bfi_b32 v42, 0xffff, v68, v42
	v_fma_f16 v31, v31, v53, -v60
	v_fmac_f16_e32 v61, v41, v53
	v_bfi_b32 v12, 0xffff, v69, v12
	v_bfi_b32 v13, 0xffff, v62, v13
	;; [unrolled: 1-line block ×6, first 2 shown]
	v_pk_add_f16 v53, v43, v42 neg_lo:[0,1] neg_hi:[0,1]
	v_sub_f16_e32 v41, v30, v31
	v_sub_f16_e32 v42, v51, v61
	v_pk_add_f16 v12, v34, v12 neg_lo:[0,1] neg_hi:[0,1]
	v_pk_add_f16 v13, v39, v13 neg_lo:[0,1] neg_hi:[0,1]
	;; [unrolled: 1-line block ×6, first 2 shown]
	v_fma_f16 v30, v30, 2.0, -v41
	v_fma_f16 v31, v51, 2.0, -v42
	v_pk_fma_f16 v34, v34, 2.0, v12 op_sel_hi:[1,0,1] neg_lo:[0,0,1] neg_hi:[0,0,1]
	v_pk_fma_f16 v39, v39, 2.0, v13 op_sel_hi:[1,0,1] neg_lo:[0,0,1] neg_hi:[0,0,1]
	;; [unrolled: 1-line block ×7, first 2 shown]
	ds_store_2addr_b32 v52, v34, v12 offset1:2
	ds_store_2addr_b32 v54, v39, v13 offset1:2
	;; [unrolled: 1-line block ×7, first 2 shown]
	s_and_saveexec_b32 s1, s0
	s_cbranch_execz .LBB0_19
; %bb.18:
	v_and_or_b32 v12, 0x37c, v29, v50
	v_perm_b32 v13, v31, v30, 0x5040100
	v_perm_b32 v14, v42, v41, 0x5040100
	s_delay_alu instid0(VALU_DEP_3)
	v_lshl_add_u32 v12, v12, 2, 0
	ds_store_2addr_b32 v12, v13, v14 offset1:2
.LBB0_19:
	s_wait_alu 0xfffe
	s_or_b32 exec_lo, exec_lo, s1
	v_add_nc_u32_e32 v16, 0x800, v32
	v_add_nc_u32_e32 v38, v22, v49
	;; [unrolled: 1-line block ×7, first 2 shown]
	global_wb scope:SCOPE_SE
	s_wait_dscnt 0x0
	s_barrier_signal -1
	s_barrier_wait -1
	global_inv scope:SCOPE_SE
	ds_load_b32 v43, v32
	ds_load_2addr_b32 v[14:15], v12 offset0:164 offset1:220
	v_add_nc_u32_e32 v39, v21, v48
	ds_load_2addr_b32 v[12:13], v16 offset0:20 offset1:76
	ds_load_2addr_b32 v[16:17], v16 offset0:132 offset1:188
	ds_load_b32 v18, v38
	ds_load_b32 v19, v37
	ds_load_b32 v20, v36
	ds_load_b32 v21, v35
	ds_load_b32 v44, v34
	ds_load_b32 v22, v39
	ds_load_b32 v5, v32 offset:3024
	s_and_saveexec_b32 s1, s0
	s_cbranch_execz .LBB0_21
; %bb.20:
	ds_load_b32 v30, v33
	ds_load_b32 v41, v32 offset:3248
	s_wait_dscnt 0x1
	v_lshrrev_b32_e32 v31, 16, v30
	s_wait_dscnt 0x0
	v_lshrrev_b32_e32 v42, 16, v41
.LBB0_21:
	s_wait_alu 0xfffe
	s_or_b32 exec_lo, exec_lo, s1
	v_and_b32_e32 v45, 3, v0
	s_delay_alu instid0(VALU_DEP_1)
	v_lshlrev_b32_e32 v46, 2, v45
	v_and_or_b32 v40, 0x78, v40, v45
	v_and_or_b32 v23, 0xf8, v23, v45
	v_and_or_b32 v24, 0x1f8, v24, v45
	v_and_or_b32 v25, 0x1f8, v25, v45
	global_load_b32 v46, v46, s[4:5] offset:8
	v_and_or_b32 v26, 0x3f8, v26, v45
	v_and_or_b32 v27, 0x2f8, v27, v45
	;; [unrolled: 1-line block ×3, first 2 shown]
	v_lshl_add_u32 v40, v40, 2, 0
	v_lshl_add_u32 v23, v23, 2, 0
	v_lshl_add_u32 v24, v24, 2, 0
	v_lshl_add_u32 v25, v25, 2, 0
	v_lshl_add_u32 v26, v26, 2, 0
	v_lshl_add_u32 v27, v27, 2, 0
	v_lshl_add_u32 v28, v28, 2, 0
	global_wb scope:SCOPE_SE
	s_wait_loadcnt_dscnt 0x0
	s_barrier_signal -1
	s_barrier_wait -1
	global_inv scope:SCOPE_SE
	v_pk_mul_f16 v49, v46, v14 op_sel:[0,1]
	v_pk_mul_f16 v50, v46, v15 op_sel:[0,1]
	;; [unrolled: 1-line block ×3, first 2 shown]
	v_lshrrev_b32_e32 v48, 16, v46
	v_pk_mul_f16 v51, v46, v12 op_sel:[0,1]
	v_pk_mul_f16 v52, v46, v13 op_sel:[0,1]
	;; [unrolled: 1-line block ×4, first 2 shown]
	v_pk_fma_f16 v56, v46, v14, v49 op_sel:[0,0,1] op_sel_hi:[1,1,0] neg_lo:[0,0,1] neg_hi:[0,0,1]
	v_pk_fma_f16 v14, v46, v14, v49 op_sel:[0,0,1] op_sel_hi:[1,0,0]
	v_pk_fma_f16 v49, v46, v15, v50 op_sel:[0,0,1] op_sel_hi:[1,1,0] neg_lo:[0,0,1] neg_hi:[0,0,1]
	v_pk_fma_f16 v15, v46, v15, v50 op_sel:[0,0,1] op_sel_hi:[1,0,0]
	;; [unrolled: 2-line block ×3, first 2 shown]
	v_mul_f16_e32 v47, v42, v48
	v_mul_f16_e32 v48, v41, v48
	v_pk_fma_f16 v50, v46, v12, v51 op_sel:[0,0,1] op_sel_hi:[1,1,0] neg_lo:[0,0,1] neg_hi:[0,0,1]
	v_pk_fma_f16 v12, v46, v12, v51 op_sel:[0,0,1] op_sel_hi:[1,0,0]
	v_pk_fma_f16 v51, v46, v13, v52 op_sel:[0,0,1] op_sel_hi:[1,1,0] neg_lo:[0,0,1] neg_hi:[0,0,1]
	v_pk_fma_f16 v13, v46, v13, v52 op_sel:[0,0,1] op_sel_hi:[1,0,0]
	;; [unrolled: 2-line block ×4, first 2 shown]
	v_bfi_b32 v14, 0xffff, v56, v14
	v_bfi_b32 v15, 0xffff, v49, v15
	v_fma_f16 v41, v41, v46, -v47
	v_fmac_f16_e32 v48, v42, v46
	v_bfi_b32 v42, 0xffff, v50, v12
	v_bfi_b32 v13, 0xffff, v51, v13
	;; [unrolled: 1-line block ×5, first 2 shown]
	v_pk_add_f16 v14, v43, v14 neg_lo:[0,1] neg_hi:[0,1]
	v_pk_add_f16 v15, v22, v15 neg_lo:[0,1] neg_hi:[0,1]
	v_sub_f16_e32 v12, v30, v41
	v_pk_add_f16 v41, v18, v42 neg_lo:[0,1] neg_hi:[0,1]
	v_pk_add_f16 v13, v19, v13 neg_lo:[0,1] neg_hi:[0,1]
	;; [unrolled: 1-line block ×4, first 2 shown]
	v_sub_f16_e32 v5, v31, v48
	v_pk_add_f16 v17, v21, v17 neg_lo:[0,1] neg_hi:[0,1]
	v_pk_fma_f16 v43, v43, 2.0, v14 op_sel_hi:[1,0,1] neg_lo:[0,0,1] neg_hi:[0,0,1]
	v_pk_fma_f16 v22, v22, 2.0, v15 op_sel_hi:[1,0,1] neg_lo:[0,0,1] neg_hi:[0,0,1]
	;; [unrolled: 1-line block ×7, first 2 shown]
	ds_store_2addr_b32 v40, v43, v14 offset1:4
	ds_store_2addr_b32 v23, v22, v15 offset1:4
	;; [unrolled: 1-line block ×7, first 2 shown]
	s_and_saveexec_b32 s1, s0
	s_cbranch_execz .LBB0_23
; %bb.22:
	v_and_or_b32 v13, 0x378, v29, v45
	v_fma_f16 v14, v30, 2.0, -v12
	v_fma_f16 v15, v31, 2.0, -v5
	s_delay_alu instid0(VALU_DEP_3) | instskip(NEXT) | instid1(VALU_DEP_2)
	v_lshl_add_u32 v13, v13, 2, 0
	v_pack_b32_f16 v14, v14, v15
	v_perm_b32 v15, v5, v12, 0x5040100
	ds_store_2addr_b32 v13, v14, v15 offset1:4
.LBB0_23:
	s_wait_alu 0xfffe
	s_or_b32 exec_lo, exec_lo, s1
	v_and_b32_e32 v25, 7, v0
	global_wb scope:SCOPE_SE
	s_wait_dscnt 0x0
	s_barrier_signal -1
	s_barrier_wait -1
	global_inv scope:SCOPE_SE
	v_lshlrev_b32_e32 v13, 3, v25
	v_add_nc_u32_e32 v14, 0x800, v32
	ds_load_b32 v26, v32
	v_and_b32_e32 v46, 0xff, v0
	v_lshrrev_b32_e32 v42, 3, v4
	global_load_b64 v[15:16], v13, s[4:5] offset:24
	v_add_nc_u32_e32 v13, 0x400, v32
	ds_load_b32 v27, v37
	ds_load_b32 v28, v35
	;; [unrolled: 1-line block ×5, first 2 shown]
	ds_load_b32 v40, v32 offset:3136
	v_lshrrev_b32_e32 v43, 3, v11
	ds_load_2addr_b32 v[17:18], v14 offset0:48 offset1:104
	ds_load_2addr_b32 v[19:20], v13 offset0:80 offset1:136
	;; [unrolled: 1-line block ×4, first 2 shown]
	v_lshrrev_b32_e32 v44, 3, v10
	v_lshrrev_b32_e32 v45, 3, v9
	v_and_b32_e32 v47, 0xff, v4
	v_lshrrev_b32_e32 v41, 3, v0
	v_and_b32_e32 v48, 0xff, v11
	v_mul_lo_u16 v46, 0xab, v46
	v_mul_lo_u32 v42, v42, 24
	v_mul_lo_u32 v43, v43, 24
	;; [unrolled: 1-line block ×4, first 2 shown]
	v_mul_lo_u16 v47, 0xab, v47
	v_mul_u32_u24_e32 v41, 24, v41
	s_wait_dscnt 0x8
	v_lshrrev_b32_e32 v57, 16, v28
	v_mul_lo_u16 v48, 0xab, v48
	v_lshrrev_b16 v46, 12, v46
	v_lshrrev_b16 v47, 12, v47
	s_wait_dscnt 0x3
	v_lshrrev_b32_e32 v61, 16, v17
	s_wait_dscnt 0x2
	v_lshrrev_b32_e32 v62, 16, v19
	v_lshrrev_b32_e32 v63, 16, v18
	;; [unrolled: 1-line block ×3, first 2 shown]
	s_wait_dscnt 0x0
	v_lshrrev_b32_e32 v58, 16, v23
	v_lshrrev_b32_e32 v59, 16, v22
	;; [unrolled: 1-line block ×9, first 2 shown]
	v_or_b32_e32 v41, v41, v25
	v_lshrrev_b16 v48, 12, v48
	v_or_b32_e32 v42, v42, v25
	v_or_b32_e32 v43, v43, v25
	;; [unrolled: 1-line block ×4, first 2 shown]
	v_mul_lo_u16 v45, v46, 24
	v_lshrrev_b32_e32 v52, 16, v31
	v_mul_lo_u16 v49, v47, 24
	v_mul_lo_u16 v50, v48, 24
	v_lshl_add_u32 v41, v41, 2, 0
	v_sub_nc_u16 v45, v0, v45
	v_lshl_add_u32 v42, v42, 2, 0
	v_sub_nc_u16 v49, v4, v49
	v_sub_nc_u16 v50, v11, v50
	v_lshl_add_u32 v43, v43, 2, 0
	v_and_b32_e32 v45, 0xff, v45
	global_wb scope:SCOPE_SE
	s_wait_loadcnt 0x0
	v_and_b32_e32 v49, 0xff, v49
	v_and_b32_e32 v50, 0xff, v50
	s_barrier_signal -1
	v_lshlrev_b32_e32 v68, 4, v45
	s_barrier_wait -1
	v_lshlrev_b32_e32 v69, 4, v49
	global_inv scope:SCOPE_SE
	v_lshl_add_u32 v44, v44, 2, 0
	v_lshl_add_u32 v25, v25, 2, 0
	v_lshlrev_b32_e32 v45, 2, v45
	v_lshlrev_b32_e32 v49, 2, v49
	v_cmp_gt_u32_e64 s1, 8, v0
	v_lshrrev_b32_e32 v66, 16, v15
	v_lshrrev_b32_e32 v67, 16, v16
	s_delay_alu instid0(VALU_DEP_2) | instskip(SKIP_1) | instid1(VALU_DEP_3)
	v_mul_f16_e32 v70, v66, v57
	v_mul_f16_e32 v71, v66, v28
	;; [unrolled: 1-line block ×20, first 2 shown]
	v_fma_f16 v28, v15, v28, -v70
	v_fmac_f16_e32 v71, v15, v57
	v_fma_f16 v17, v16, v17, -v72
	v_fmac_f16_e32 v73, v16, v61
	;; [unrolled: 2-line block ×7, first 2 shown]
	v_fmac_f16_e32 v85, v59, v16
	v_fma_f16 v24, v24, v15, -v86
	v_fmac_f16_e32 v66, v60, v15
	v_fma_f16 v15, v40, v16, -v87
	;; [unrolled: 2-line block ×3, first 2 shown]
	v_add_f16_e32 v40, v28, v17
	v_add_f16_e32 v58, v71, v73
	;; [unrolled: 1-line block ×4, first 2 shown]
	v_sub_f16_e32 v56, v71, v73
	v_add_f16_e32 v57, v51, v71
	v_add_f16_e32 v65, v20, v21
	v_sub_f16_e32 v70, v79, v81
	v_add_f16_e32 v71, v53, v79
	v_add_f16_e32 v72, v79, v81
	;; [unrolled: 3-line block ×3, first 2 shown]
	v_add_f16_e32 v82, v24, v15
	v_sub_f16_e32 v83, v66, v67
	v_add_f16_e32 v84, v55, v66
	v_add_f16_e32 v66, v66, v67
	;; [unrolled: 1-line block ×3, first 2 shown]
	v_sub_f16_e32 v28, v28, v17
	v_add_f16_e32 v59, v31, v19
	v_sub_f16_e32 v61, v75, v77
	v_add_f16_e32 v62, v52, v75
	v_add_f16_e32 v64, v30, v20
	;; [unrolled: 1-line block ×4, first 2 shown]
	v_fmac_f16_e32 v26, -0.5, v40
	v_fmac_f16_e32 v51, -0.5, v58
	v_sub_f16_e32 v19, v19, v18
	v_fmac_f16_e32 v31, -0.5, v60
	v_fmac_f16_e32 v52, -0.5, v63
	v_sub_f16_e32 v20, v20, v21
	v_sub_f16_e32 v23, v23, v22
	v_add_f16_e32 v80, v29, v24
	v_sub_f16_e32 v24, v24, v15
	v_fmac_f16_e32 v30, -0.5, v65
	v_fmac_f16_e32 v53, -0.5, v72
	;; [unrolled: 1-line block ×5, first 2 shown]
	v_add_f16_e32 v16, v16, v17
	v_add_f16_e32 v17, v57, v73
	;; [unrolled: 1-line block ×7, first 2 shown]
	v_fmac_f16_e32 v27, -0.5, v75
	v_add_f16_e32 v58, v78, v85
	v_fmamk_f16 v60, v56, 0x3aee, v26
	v_fmac_f16_e32 v26, 0xbaee, v56
	v_fmamk_f16 v56, v28, 0xbaee, v51
	v_fmac_f16_e32 v51, 0x3aee, v28
	;; [unrolled: 2-line block ×4, first 2 shown]
	v_add_f16_e32 v15, v80, v15
	v_add_f16_e32 v59, v84, v67
	v_fmamk_f16 v19, v70, 0x3aee, v30
	v_fmamk_f16 v62, v20, 0xbaee, v53
	;; [unrolled: 1-line block ×3, first 2 shown]
	v_fmac_f16_e32 v54, 0x3aee, v23
	v_fmamk_f16 v23, v83, 0x3aee, v29
	v_fmamk_f16 v64, v24, 0xbaee, v55
	v_fmac_f16_e32 v30, 0xbaee, v70
	v_fmac_f16_e32 v53, 0x3aee, v20
	v_fmamk_f16 v20, v76, 0x3aee, v27
	v_fmac_f16_e32 v27, 0xbaee, v76
	v_fmac_f16_e32 v29, 0xbaee, v83
	;; [unrolled: 1-line block ×3, first 2 shown]
	v_pack_b32_f16 v16, v16, v17
	v_pack_b32_f16 v17, v18, v40
	;; [unrolled: 1-line block ×15, first 2 shown]
	ds_store_2addr_b32 v41, v16, v22 offset1:8
	ds_store_b32 v41, v24 offset:64
	ds_store_2addr_b32 v42, v17, v26 offset1:8
	ds_store_b32 v42, v28 offset:64
	;; [unrolled: 2-line block ×5, first 2 shown]
	global_wb scope:SCOPE_SE
	s_wait_dscnt 0x0
	s_barrier_signal -1
	s_barrier_wait -1
	global_inv scope:SCOPE_SE
	global_load_b128 v[15:18], v68, s[4:5] offset:88
	v_lshlrev_b32_e32 v23, 4, v50
	s_clause 0x1
	global_load_b128 v[19:22], v69, s[4:5] offset:88
	global_load_b128 v[23:26], v23, s[4:5] offset:88
	v_and_b32_e32 v27, 0xffff, v46
	v_and_b32_e32 v28, 0xffff, v47
	;; [unrolled: 1-line block ×3, first 2 shown]
	v_lshlrev_b32_e32 v50, 2, v50
	v_add_nc_u32_e32 v44, 0xa0, v32
	v_mul_u32_u24_e32 v31, 0x1e0, v27
	v_mul_u32_u24_e32 v47, 0x1e0, v28
	;; [unrolled: 1-line block ×3, first 2 shown]
	ds_load_2addr_b32 v[27:28], v32 offset1:224
	ds_load_2addr_b32 v[29:30], v14 offset0:160 offset1:216
	ds_load_b32 v51, v39
	ds_load_2addr_b32 v[40:41], v13 offset0:24 offset1:136
	ds_load_2addr_b32 v[42:43], v14 offset0:48 offset1:104
	ds_load_b32 v52, v34
	ds_load_b32 v53, v37
	;; [unrolled: 1-line block ×3, first 2 shown]
	ds_load_2addr_b32 v[13:14], v13 offset0:192 offset1:248
	ds_load_u16 v55, v32 offset:898
	ds_load_b32 v56, v32 offset:3136
	v_add3_u32 v31, 0, v31, v45
	v_add3_u32 v45, 0, v47, v49
	;; [unrolled: 1-line block ×3, first 2 shown]
	v_add_nc_u32_e32 v46, 0x80, v32
	v_add_nc_u32_e32 v57, 0x60, v32
	;; [unrolled: 1-line block ×3, first 2 shown]
	global_wb scope:SCOPE_SE
	s_wait_loadcnt_dscnt 0x0
	s_barrier_signal -1
	s_barrier_wait -1
	global_inv scope:SCOPE_SE
	v_lshrrev_b32_e32 v48, 16, v27
	v_lshrrev_b32_e32 v69, 16, v29
	;; [unrolled: 1-line block ×26, first 2 shown]
	v_mul_f16_e32 v82, v70, v66
	v_mul_f16_e32 v70, v70, v53
	;; [unrolled: 1-line block ×24, first 2 shown]
	v_fma_f16 v53, v15, v53, -v82
	v_fmac_f16_e32 v70, v15, v66
	v_fma_f16 v15, v16, v52, -v83
	v_fmac_f16_e32 v71, v16, v67
	;; [unrolled: 2-line block ×12, first 2 shown]
	v_add_f16_e32 v24, v27, v53
	v_add_f16_e32 v25, v15, v14
	v_sub_f16_e32 v29, v53, v15
	v_sub_f16_e32 v30, v16, v14
	v_add_f16_e32 v43, v48, v70
	v_add_f16_e32 v50, v71, v72
	;; [unrolled: 1-line block ×4, first 2 shown]
	v_sub_f16_e32 v41, v15, v53
	v_sub_f16_e32 v42, v14, v16
	;; [unrolled: 1-line block ×6, first 2 shown]
	v_add_f16_e32 v63, v51, v17
	v_add_f16_e32 v64, v18, v19
	v_add_f16_e32 v83, v49, v74
	v_add_f16_e32 v84, v75, v76
	v_add_f16_e32 v69, v17, v20
	v_add_f16_e32 v88, v74, v77
	v_add_f16_e32 v90, v54, v21
	v_add_f16_e32 v91, v13, v22
	v_add_f16_e32 v96, v21, v23
	v_add_f16_e32 v99, v61, v78
	v_add_f16_e32 v100, v79, v80
	v_add_f16_e32 v104, v78, v81
	v_sub_f16_e32 v26, v70, v73
	v_sub_f16_e32 v52, v53, v16
	;; [unrolled: 1-line block ×3, first 2 shown]
	v_add_f16_e32 v15, v24, v15
	v_add_f16_e32 v24, v29, v30
	v_fma_f16 v25, -0.5, v25, v27
	v_add_f16_e32 v30, v43, v71
	v_fma_f16 v43, -0.5, v50, v48
	v_sub_f16_e32 v28, v71, v72
	v_sub_f16_e32 v65, v74, v77
	;; [unrolled: 1-line block ×5, first 2 shown]
	v_fmac_f16_e32 v27, -0.5, v40
	v_fmac_f16_e32 v48, -0.5, v59
	v_sub_f16_e32 v67, v17, v18
	v_sub_f16_e32 v70, v18, v17
	;; [unrolled: 1-line block ×4, first 2 shown]
	v_add_f16_e32 v29, v41, v42
	v_add_f16_e32 v42, v55, v56
	;; [unrolled: 1-line block ×4, first 2 shown]
	v_fma_f16 v56, -0.5, v64, v51
	v_add_f16_e32 v60, v83, v75
	v_fma_f16 v62, -0.5, v84, v49
	v_sub_f16_e32 v66, v75, v76
	v_sub_f16_e32 v82, v19, v20
	;; [unrolled: 1-line block ×11, first 2 shown]
	v_fmac_f16_e32 v51, -0.5, v69
	v_fmac_f16_e32 v49, -0.5, v88
	v_add_f16_e32 v13, v90, v13
	v_fma_f16 v40, -0.5, v91, v54
	v_fmac_f16_e32 v54, -0.5, v96
	v_add_f16_e32 v69, v99, v79
	v_fma_f16 v41, -0.5, v100, v61
	v_fmac_f16_e32 v61, -0.5, v104
	v_add_f16_e32 v14, v15, v14
	v_fmamk_f16 v15, v26, 0x3b9c, v25
	v_add_f16_e32 v30, v30, v72
	v_fmamk_f16 v72, v52, 0xbb9c, v43
	;; [unrolled: 2-line block ×3, first 2 shown]
	v_fmac_f16_e32 v27, 0x3b9c, v28
	v_fmamk_f16 v75, v53, 0x3b9c, v48
	v_fmac_f16_e32 v48, 0xbb9c, v53
	v_fmac_f16_e32 v25, 0xbb9c, v26
	;; [unrolled: 1-line block ×3, first 2 shown]
	v_sub_f16_e32 v68, v20, v19
	v_sub_f16_e32 v87, v77, v76
	v_add_f16_e32 v18, v18, v19
	v_fmamk_f16 v19, v65, 0x3b9c, v56
	v_add_f16_e32 v60, v60, v76
	v_fmamk_f16 v76, v17, 0xbb9c, v62
	v_sub_f16_e32 v95, v23, v22
	v_sub_f16_e32 v98, v22, v23
	;; [unrolled: 1-line block ×3, first 2 shown]
	v_add_f16_e32 v59, v70, v82
	v_add_f16_e32 v71, v78, v105
	v_fmac_f16_e32 v56, 0xbb9c, v65
	v_fmamk_f16 v78, v66, 0xbb9c, v51
	v_fmac_f16_e32 v51, 0x3b9c, v66
	v_fmac_f16_e32 v62, 0x3b9c, v17
	v_fmamk_f16 v79, v85, 0x3b9c, v49
	v_fmac_f16_e32 v49, 0xbb9c, v85
	v_add_f16_e32 v13, v13, v22
	v_fmamk_f16 v22, v92, 0x3b9c, v40
	v_fmac_f16_e32 v40, 0xbb9c, v92
	v_fmamk_f16 v82, v93, 0xbb9c, v54
	v_fmac_f16_e32 v54, 0x3b9c, v93
	v_add_f16_e32 v69, v69, v80
	v_fmamk_f16 v80, v21, 0xbb9c, v41
	v_fmac_f16_e32 v41, 0x3b9c, v21
	v_fmamk_f16 v83, v101, 0x3b9c, v61
	v_fmac_f16_e32 v61, 0xbb9c, v101
	v_fmac_f16_e32 v15, 0x38b4, v28
	;; [unrolled: 1-line block ×9, first 2 shown]
	v_add_f16_e32 v55, v67, v68
	v_add_f16_e32 v63, v86, v87
	v_fmac_f16_e32 v19, 0x38b4, v66
	v_fmac_f16_e32 v76, 0xb8b4, v85
	v_add_f16_e32 v67, v94, v95
	v_add_f16_e32 v68, v97, v98
	;; [unrolled: 1-line block ×3, first 2 shown]
	v_fmac_f16_e32 v56, 0xb8b4, v66
	v_fmac_f16_e32 v78, 0x38b4, v65
	v_fmac_f16_e32 v51, 0xb8b4, v65
	v_fmac_f16_e32 v62, 0x38b4, v85
	v_fmac_f16_e32 v79, 0xb8b4, v17
	v_fmac_f16_e32 v49, 0x38b4, v17
	v_fmac_f16_e32 v22, 0x38b4, v93
	v_fmac_f16_e32 v40, 0xb8b4, v93
	v_fmac_f16_e32 v82, 0x38b4, v92
	v_fmac_f16_e32 v54, 0xb8b4, v92
	v_fmac_f16_e32 v80, 0xb8b4, v101
	v_fmac_f16_e32 v41, 0x38b4, v101
	v_fmac_f16_e32 v83, 0xb8b4, v21
	v_fmac_f16_e32 v61, 0x38b4, v21
	v_add_f16_e32 v14, v14, v16
	v_add_f16_e32 v16, v30, v73
	v_fmac_f16_e32 v15, 0x34f2, v24
	v_fmac_f16_e32 v72, 0x34f2, v42
	v_add_f16_e32 v18, v18, v20
	v_add_f16_e32 v20, v60, v77
	;; [unrolled: 1-line block ×4, first 2 shown]
	v_fmac_f16_e32 v74, 0x34f2, v29
	v_fmac_f16_e32 v27, 0x34f2, v29
	;; [unrolled: 1-line block ×22, first 2 shown]
	v_pack_b32_f16 v14, v14, v16
	v_pack_b32_f16 v15, v15, v72
	;; [unrolled: 1-line block ×15, first 2 shown]
	ds_store_2addr_b32 v31, v14, v15 offset1:24
	ds_store_2addr_b32 v31, v17, v18 offset0:48 offset1:72
	ds_store_b32 v31, v20 offset:384
	ds_store_2addr_b32 v45, v16, v19 offset1:24
	ds_store_2addr_b32 v45, v21, v23 offset0:48 offset1:72
	ds_store_b32 v45, v24 offset:384
	;; [unrolled: 3-line block ×3, first 2 shown]
	global_wb scope:SCOPE_SE
	s_wait_dscnt 0x0
	s_barrier_signal -1
	s_barrier_wait -1
	global_inv scope:SCOPE_SE
	ds_load_2addr_b32 v[18:19], v32 offset1:120
	ds_load_2addr_b32 v[30:31], v32 offset0:176 offset1:240
	ds_load_2addr_stride64_b32 v[28:29], v44 offset0:4 offset1:5
	ds_load_2addr_stride64_b32 v[26:27], v46 offset0:6 offset1:7
	;; [unrolled: 1-line block ×4, first 2 shown]
	ds_load_b32 v47, v39
	ds_load_b32 v48, v32 offset:3104
                                        ; implicit-def: $vgpr42
                                        ; implicit-def: $vgpr43
                                        ; implicit-def: $vgpr15
                                        ; implicit-def: $vgpr46
                                        ; implicit-def: $vgpr17
                                        ; implicit-def: $vgpr44
                                        ; implicit-def: $vgpr45
	s_and_saveexec_b32 s2, s1
	s_cbranch_execz .LBB0_25
; %bb.24:
	v_add_nc_u32_e32 v5, 0x200, v32
	v_add_nc_u32_e32 v14, 0x600, v32
	;; [unrolled: 1-line block ×3, first 2 shown]
	ds_load_b32 v40, v38
	ds_load_2addr_b32 v[12:13], v5 offset0:104 offset1:224
	ds_load_2addr_b32 v[14:15], v14 offset0:88 offset1:208
	;; [unrolled: 1-line block ×3, first 2 shown]
	s_wait_dscnt 0x3
	v_lshrrev_b32_e32 v41, 16, v40
	s_wait_dscnt 0x2
	v_lshrrev_b32_e32 v5, 16, v12
	v_lshrrev_b32_e32 v42, 16, v13
	s_wait_dscnt 0x1
	v_lshrrev_b32_e32 v45, 16, v14
	;; [unrolled: 3-line block ×3, first 2 shown]
	v_lshrrev_b32_e32 v46, 16, v17
.LBB0_25:
	s_wait_alu 0xfffe
	s_or_b32 exec_lo, exec_lo, s2
	v_mul_u32_u24_e32 v20, 6, v0
	v_dual_mov_b32 v21, 0 :: v_dual_add_nc_u32 v74, 0x200, v32
	s_wait_dscnt 0x2
	v_lshrrev_b32_e32 v66, 16, v23
	v_lshrrev_b32_e32 v67, 16, v25
	v_lshlrev_b32_e32 v53, 2, v20
	v_mul_i32_i24_e32 v20, 6, v4
	v_lshrrev_b32_e32 v68, 16, v27
	v_lshrrev_b32_e32 v69, 16, v29
	v_lshrrev_b32_e32 v70, 16, v31
	s_clause 0x1
	global_load_b128 v[49:52], v53, s[4:5] offset:472
	global_load_b64 v[57:58], v53, s[4:5] offset:488
	v_lshlrev_b64_e32 v[53:54], 2, v[20:21]
	v_lshrrev_b32_e32 v71, 16, v19
	v_lshrrev_b32_e32 v61, 16, v24
	;; [unrolled: 1-line block ×3, first 2 shown]
	s_wait_dscnt 0x0
	v_lshrrev_b32_e32 v63, 16, v48
	v_lshrrev_b32_e32 v64, 16, v28
	v_add_co_u32 v59, s2, s4, v53
	s_wait_alu 0xf1ff
	v_add_co_ci_u32_e64 v60, s2, s5, v54, s2
	v_lshrrev_b32_e32 v65, 16, v30
	v_lshrrev_b32_e32 v20, 16, v26
	s_clause 0x1
	global_load_b128 v[53:56], v[59:60], off offset:472
	global_load_b64 v[59:60], v[59:60], off offset:488
	v_lshrrev_b32_e32 v72, 16, v18
	v_lshrrev_b32_e32 v73, 16, v47
	v_add_nc_u32_e32 v75, 0x600, v32
	global_wb scope:SCOPE_SE
	s_wait_loadcnt 0x0
	s_barrier_signal -1
	s_barrier_wait -1
	global_inv scope:SCOPE_SE
	v_add_nc_u32_e32 v76, 0x200, v39
	v_add_nc_u32_e32 v77, 0x600, v39
	v_lshrrev_b32_e32 v78, 16, v49
	v_lshrrev_b32_e32 v79, 16, v50
	;; [unrolled: 1-line block ×6, first 2 shown]
	v_mul_f16_e32 v84, v78, v71
	v_mul_f16_e32 v78, v78, v19
	;; [unrolled: 1-line block ×12, first 2 shown]
	v_lshrrev_b32_e32 v90, 16, v53
	v_lshrrev_b32_e32 v91, 16, v54
	;; [unrolled: 1-line block ×6, first 2 shown]
	v_fma_f16 v19, v49, v19, -v84
	v_fmac_f16_e32 v78, v49, v71
	v_fma_f16 v31, v50, v31, -v85
	v_fmac_f16_e32 v79, v50, v70
	;; [unrolled: 2-line block ×6, first 2 shown]
	v_mul_f16_e32 v49, v90, v65
	v_mul_f16_e32 v50, v90, v30
	v_mul_f16_e32 v51, v91, v64
	v_mul_f16_e32 v52, v91, v28
	v_mul_f16_e32 v58, v26, v92
	v_mul_f16_e32 v66, v61, v93
	v_mul_f16_e32 v68, v62, v94
	v_mul_f16_e32 v69, v22, v94
	v_mul_f16_e32 v70, v63, v95
	v_mul_f16_e32 v71, v48, v95
	v_mul_f16_e32 v57, v20, v92
	v_mul_f16_e32 v67, v24, v93
	v_add_f16_e32 v84, v19, v23
	v_add_f16_e32 v85, v78, v83
	v_sub_f16_e32 v19, v19, v23
	v_sub_f16_e32 v23, v78, v83
	v_add_f16_e32 v78, v31, v25
	v_add_f16_e32 v83, v79, v82
	v_sub_f16_e32 v25, v31, v25
	v_sub_f16_e32 v31, v79, v82
	;; [unrolled: 4-line block ×3, first 2 shown]
	v_fma_f16 v30, v53, v30, -v49
	v_fmac_f16_e32 v50, v53, v65
	v_fma_f16 v28, v54, v28, -v51
	v_fmac_f16_e32 v52, v54, v64
	v_fmac_f16_e32 v58, v20, v55
	v_fma_f16 v20, v24, v56, -v66
	v_fma_f16 v22, v22, v59, -v68
	v_fmac_f16_e32 v69, v62, v59
	v_fma_f16 v24, v48, v60, -v70
	v_fmac_f16_e32 v71, v63, v60
	;; [unrolled: 2-line block ×3, first 2 shown]
	v_add_f16_e32 v48, v78, v84
	v_add_f16_e32 v49, v83, v85
	v_sub_f16_e32 v54, v84, v79
	v_sub_f16_e32 v55, v85, v82
	;; [unrolled: 1-line block ×4, first 2 shown]
	v_add_f16_e32 v59, v27, v25
	v_add_f16_e32 v60, v29, v31
	v_sub_f16_e32 v61, v27, v25
	v_sub_f16_e32 v62, v29, v31
	;; [unrolled: 1-line block ×4, first 2 shown]
	v_add_f16_e32 v63, v30, v24
	v_add_f16_e32 v64, v50, v71
	v_sub_f16_e32 v24, v30, v24
	v_sub_f16_e32 v30, v50, v71
	v_add_f16_e32 v50, v28, v22
	v_add_f16_e32 v65, v52, v69
	v_sub_f16_e32 v51, v78, v84
	v_sub_f16_e32 v53, v83, v85
	;; [unrolled: 1-line block ×6, first 2 shown]
	v_add_f16_e32 v52, v26, v20
	v_add_f16_e32 v66, v58, v67
	v_sub_f16_e32 v20, v20, v26
	v_sub_f16_e32 v26, v67, v58
	v_add_f16_e32 v48, v79, v48
	v_add_f16_e32 v49, v82, v49
	;; [unrolled: 1-line block ×4, first 2 shown]
	v_mul_f16_e32 v54, 0x3a52, v54
	v_mul_f16_e32 v55, 0x3a52, v55
	;; [unrolled: 1-line block ×8, first 2 shown]
	v_add_f16_e32 v68, v50, v63
	v_add_f16_e32 v69, v65, v64
	v_sub_f16_e32 v70, v50, v63
	v_sub_f16_e32 v71, v65, v64
	;; [unrolled: 1-line block ×5, first 2 shown]
	v_add_f16_e32 v78, v20, v22
	v_add_f16_e32 v79, v26, v28
	v_sub_f16_e32 v80, v20, v22
	v_sub_f16_e32 v81, v26, v28
	;; [unrolled: 1-line block ×4, first 2 shown]
	v_add_f16_e32 v18, v48, v18
	v_add_f16_e32 v72, v49, v72
	v_fmamk_f16 v56, v56, 0x2b26, v54
	v_fmamk_f16 v57, v57, 0x2b26, v55
	v_fma_f16 v58, v51, 0x39e0, -v58
	v_fma_f16 v59, v53, 0x39e0, -v59
	;; [unrolled: 1-line block ×4, first 2 shown]
	v_fmamk_f16 v54, v27, 0x3574, v60
	v_fmamk_f16 v55, v29, 0x3574, v61
	v_fma_f16 v25, v25, 0x3b00, -v60
	v_fma_f16 v31, v31, 0x3b00, -v61
	;; [unrolled: 1-line block ×4, first 2 shown]
	v_add_f16_e32 v52, v52, v68
	v_add_f16_e32 v60, v66, v69
	v_sub_f16_e32 v65, v66, v65
	v_sub_f16_e32 v20, v24, v20
	;; [unrolled: 1-line block ×3, first 2 shown]
	v_mul_f16_e32 v61, 0x3a52, v63
	v_mul_f16_e32 v62, 0x3a52, v64
	;; [unrolled: 1-line block ×7, first 2 shown]
	v_fmamk_f16 v48, v48, 0xbcab, v18
	v_fmamk_f16 v49, v49, 0xbcab, v72
	v_fmac_f16_e32 v54, 0x370e, v19
	v_fmac_f16_e32 v55, 0x370e, v23
	;; [unrolled: 1-line block ×6, first 2 shown]
	v_add_f16_e32 v19, v52, v47
	v_add_f16_e32 v23, v60, v73
	v_mul_f16_e32 v64, 0x2b26, v65
	v_add_f16_e32 v24, v78, v24
	v_add_f16_e32 v30, v79, v30
	v_fmamk_f16 v47, v50, 0x2b26, v61
	v_fmamk_f16 v50, v65, 0x2b26, v62
	v_fma_f16 v63, v70, 0x39e0, -v63
	v_fma_f16 v61, v70, 0xb9e0, -v61
	v_fmamk_f16 v65, v20, 0x3574, v66
	v_fmamk_f16 v70, v26, 0x3574, v67
	v_fma_f16 v22, v22, 0x3b00, -v66
	v_fma_f16 v28, v28, 0x3b00, -v67
	;; [unrolled: 1-line block ×4, first 2 shown]
	v_add_f16_e32 v56, v56, v48
	v_add_f16_e32 v57, v57, v49
	;; [unrolled: 1-line block ×6, first 2 shown]
	v_fmamk_f16 v51, v52, 0xbcab, v19
	v_fmamk_f16 v52, v60, 0xbcab, v23
	v_fma_f16 v64, v71, 0x39e0, -v64
	v_fma_f16 v62, v71, 0xb9e0, -v62
	v_fmac_f16_e32 v65, 0x370e, v24
	v_fmac_f16_e32 v70, 0x370e, v30
	;; [unrolled: 1-line block ×6, first 2 shown]
	v_pack_b32_f16 v19, v19, v23
	v_add_f16_e32 v23, v55, v56
	v_sub_f16_e32 v24, v57, v54
	v_add_f16_e32 v30, v29, v48
	v_sub_f16_e32 v53, v49, v27
	v_sub_f16_e32 v60, v58, v31
	v_add_f16_e32 v66, v25, v59
	v_add_f16_e32 v31, v31, v58
	v_sub_f16_e32 v25, v59, v25
	v_sub_f16_e32 v29, v48, v29
	v_add_f16_e32 v27, v27, v49
	v_sub_f16_e32 v48, v56, v55
	v_add_f16_e32 v49, v54, v57
	v_add_f16_e32 v47, v47, v51
	;; [unrolled: 1-line block ×7, first 2 shown]
	v_pack_b32_f16 v18, v18, v72
	v_pack_b32_f16 v23, v23, v24
	;; [unrolled: 1-line block ×5, first 2 shown]
	v_add_f16_e32 v31, v70, v47
	v_sub_f16_e32 v48, v50, v65
	v_pack_b32_f16 v24, v30, v53
	v_pack_b32_f16 v30, v60, v66
	v_add_f16_e32 v49, v26, v51
	v_sub_f16_e32 v53, v52, v20
	v_sub_f16_e32 v56, v54, v28
	v_add_f16_e32 v57, v22, v55
	v_add_f16_e32 v28, v28, v54
	v_sub_f16_e32 v22, v55, v22
	v_sub_f16_e32 v26, v51, v26
	v_add_f16_e32 v20, v20, v52
	v_sub_f16_e32 v47, v47, v70
	v_add_f16_e32 v50, v65, v50
	ds_store_2addr_b32 v32, v18, v23 offset1:120
	ds_store_2addr_b32 v74, v24, v30 offset0:112 offset1:232
	ds_store_2addr_b32 v75, v25, v27 offset0:96 offset1:216
	v_pack_b32_f16 v18, v31, v48
	v_pack_b32_f16 v23, v49, v53
	;; [unrolled: 1-line block ×6, first 2 shown]
	ds_store_b32 v32, v29 offset:2880
	ds_store_2addr_b32 v39, v19, v18 offset1:120
	ds_store_2addr_b32 v76, v23, v24 offset0:112 offset1:232
	ds_store_2addr_b32 v77, v22, v20 offset0:96 offset1:216
	ds_store_b32 v39, v25 offset:2880
	s_and_saveexec_b32 s2, s1
	s_cbranch_execz .LBB0_27
; %bb.26:
	v_add_nc_u32_e32 v18, -8, v0
	v_add_nc_u32_e32 v24, 0x400, v32
	v_add_nc_u32_e32 v25, 0x800, v32
	s_delay_alu instid0(VALU_DEP_3) | instskip(NEXT) | instid1(VALU_DEP_1)
	v_cndmask_b32_e64 v18, v18, v11, s1
	v_mul_i32_i24_e32 v20, 6, v18
	s_delay_alu instid0(VALU_DEP_1) | instskip(NEXT) | instid1(VALU_DEP_1)
	v_lshlrev_b64_e32 v[18:19], 2, v[20:21]
	v_add_co_u32 v22, s1, s4, v18
	s_wait_alu 0xf1ff
	s_delay_alu instid0(VALU_DEP_2)
	v_add_co_ci_u32_e64 v23, s1, s5, v19, s1
	s_clause 0x1
	global_load_b128 v[18:21], v[22:23], off offset:472
	global_load_b64 v[22:23], v[22:23], off offset:488
	s_wait_loadcnt 0x1
	v_lshrrev_b32_e32 v26, 16, v18
	v_lshrrev_b32_e32 v27, 16, v19
	s_wait_loadcnt 0x0
	v_lshrrev_b32_e32 v28, 16, v23
	v_lshrrev_b32_e32 v31, 16, v22
	;; [unrolled: 1-line block ×4, first 2 shown]
	v_mul_f16_e32 v47, v5, v26
	v_mul_f16_e32 v48, v46, v28
	;; [unrolled: 1-line block ×12, first 2 shown]
	v_fma_f16 v12, v12, v18, -v47
	v_fma_f16 v17, v17, v23, -v48
	;; [unrolled: 1-line block ×4, first 2 shown]
	v_fmac_f16_e32 v28, v46, v23
	v_fmac_f16_e32 v26, v5, v18
	;; [unrolled: 1-line block ×4, first 2 shown]
	v_fma_f16 v15, v15, v21, -v49
	v_fma_f16 v14, v14, v20, -v50
	v_fmac_f16_e32 v30, v45, v20
	v_fmac_f16_e32 v29, v43, v21
	v_sub_f16_e32 v5, v12, v17
	v_sub_f16_e32 v19, v13, v16
	v_add_f16_e32 v20, v26, v28
	v_add_f16_e32 v22, v27, v31
	;; [unrolled: 1-line block ×4, first 2 shown]
	v_sub_f16_e32 v18, v15, v14
	v_add_f16_e32 v21, v30, v29
	v_add_f16_e32 v14, v14, v15
	v_sub_f16_e32 v15, v26, v28
	v_sub_f16_e32 v16, v29, v30
	v_sub_f16_e32 v17, v27, v31
	v_add_f16_e32 v29, v22, v20
	v_add_f16_e32 v42, v13, v12
	v_sub_f16_e32 v23, v5, v18
	v_sub_f16_e32 v26, v18, v19
	v_add_f16_e32 v18, v18, v19
	v_sub_f16_e32 v27, v20, v21
	v_sub_f16_e32 v28, v21, v22
	;; [unrolled: 1-line block ×6, first 2 shown]
	v_add_f16_e32 v16, v16, v17
	v_sub_f16_e32 v19, v19, v5
	v_sub_f16_e32 v12, v13, v12
	;; [unrolled: 1-line block ×3, first 2 shown]
	v_add_f16_e32 v21, v21, v29
	v_add_f16_e32 v14, v14, v42
	v_sub_f16_e32 v20, v22, v20
	v_mul_f16_e32 v17, 0xb846, v26
	v_add_f16_e32 v5, v18, v5
	v_mul_f16_e32 v18, 0x3a52, v27
	v_mul_f16_e32 v26, 0x3a52, v30
	;; [unrolled: 1-line block ×3, first 2 shown]
	v_add_f16_e32 v15, v16, v15
	v_mul_f16_e32 v16, 0x3b00, v19
	v_mul_f16_e32 v30, 0x3b00, v13
	v_add_f16_e32 v41, v41, v21
	v_add_f16_e32 v40, v40, v14
	v_mul_f16_e32 v22, 0x2b26, v28
	v_mul_f16_e32 v27, 0x2b26, v31
	v_fmamk_f16 v42, v23, 0x3574, v17
	v_fmamk_f16 v28, v28, 0x2b26, v18
	;; [unrolled: 1-line block ×4, first 2 shown]
	v_fma_f16 v16, v23, 0xb574, -v16
	v_fma_f16 v18, v20, 0xb9e0, -v18
	;; [unrolled: 1-line block ×6, first 2 shown]
	v_fmamk_f16 v19, v21, 0xbcab, v41
	v_fmamk_f16 v14, v14, 0xbcab, v40
	v_fma_f16 v20, v20, 0x39e0, -v22
	v_fma_f16 v12, v12, 0x39e0, -v27
	v_fmac_f16_e32 v42, 0x370e, v5
	v_fmac_f16_e32 v44, 0x370e, v15
	;; [unrolled: 1-line block ×5, first 2 shown]
	v_add_f16_e32 v15, v28, v19
	v_add_f16_e32 v21, v31, v14
	;; [unrolled: 1-line block ×3, first 2 shown]
	v_fmac_f16_e32 v17, 0x370e, v5
	v_add_f16_e32 v22, v23, v14
	v_add_f16_e32 v19, v20, v19
	;; [unrolled: 1-line block ×5, first 2 shown]
	v_sub_f16_e32 v16, v18, v16
	v_sub_f16_e32 v15, v15, v42
	v_add_f16_e32 v18, v44, v21
	v_sub_f16_e32 v20, v21, v44
	v_sub_f16_e32 v27, v19, v17
	v_add_f16_e32 v17, v17, v19
	v_add_f16_e32 v19, v26, v22
	v_sub_f16_e32 v21, v12, v13
	v_add_f16_e32 v12, v13, v12
	v_sub_f16_e32 v13, v22, v26
	v_pack_b32_f16 v5, v40, v41
	v_pack_b32_f16 v15, v18, v15
	;; [unrolled: 1-line block ×7, first 2 shown]
	ds_store_2addr_b32 v32, v5, v15 offset0:112 offset1:232
	ds_store_2addr_b32 v24, v16, v17 offset0:96 offset1:216
	;; [unrolled: 1-line block ×3, first 2 shown]
	ds_store_b32 v32, v14 offset:3328
.LBB0_27:
	s_wait_alu 0xfffe
	s_or_b32 exec_lo, exec_lo, s2
	global_wb scope:SCOPE_SE
	s_wait_dscnt 0x0
	s_barrier_signal -1
	s_barrier_wait -1
	global_inv scope:SCOPE_SE
	ds_load_b32 v5, v32
	v_sub_nc_u32_e32 v13, 0, v1
	s_mov_b32 s2, exec_lo
                                        ; implicit-def: $vgpr15
                                        ; implicit-def: $vgpr14
                                        ; implicit-def: $vgpr1
	s_wait_dscnt 0x0
	v_lshrrev_b32_e32 v12, 16, v5
	v_cmpx_ne_u32_e32 0, v0
	s_wait_alu 0xfffe
	s_xor_b32 s2, exec_lo, s2
	s_cbranch_execz .LBB0_29
; %bb.28:
	v_mov_b32_e32 v1, 0
	s_delay_alu instid0(VALU_DEP_1)
	v_lshlrev_b64_e32 v[14:15], 2, v[0:1]
	ds_load_b32 v1, v13 offset:3360
	v_add_co_u32 v14, s1, s4, v14
	s_wait_alu 0xf1ff
	v_add_co_ci_u32_e64 v15, s1, s5, v15, s1
	global_load_b32 v15, v[14:15], off offset:3352
	s_wait_dscnt 0x0
	v_lshrrev_b32_e32 v14, 16, v1
	v_sub_f16_e32 v16, v5, v1
	v_add_f16_e32 v1, v1, v5
	s_delay_alu instid0(VALU_DEP_3) | instskip(SKIP_1) | instid1(VALU_DEP_4)
	v_add_f16_e32 v17, v14, v12
	v_sub_f16_e32 v12, v12, v14
	v_mul_f16_e32 v16, 0.5, v16
	s_delay_alu instid0(VALU_DEP_3) | instskip(NEXT) | instid1(VALU_DEP_3)
	v_mul_f16_e32 v5, 0.5, v17
	v_mul_f16_e32 v12, 0.5, v12
	s_wait_loadcnt 0x0
	v_lshrrev_b32_e32 v14, 16, v15
	s_delay_alu instid0(VALU_DEP_1) | instskip(NEXT) | instid1(VALU_DEP_3)
	v_mul_f16_e32 v17, v14, v16
	v_fma_f16 v18, v5, v14, v12
	v_fma_f16 v12, v5, v14, -v12
	s_delay_alu instid0(VALU_DEP_3) | instskip(SKIP_1) | instid1(VALU_DEP_4)
	v_fma_f16 v19, 0.5, v1, v17
	v_fma_f16 v17, v1, 0.5, -v17
	v_fma_f16 v1, -v15, v16, v18
	s_delay_alu instid0(VALU_DEP_3) | instskip(NEXT) | instid1(VALU_DEP_3)
	v_fmac_f16_e32 v19, v15, v5
	v_fma_f16 v14, -v15, v5, v17
	v_fma_f16 v15, -v15, v16, v12
                                        ; implicit-def: $vgpr12
                                        ; implicit-def: $vgpr5
	ds_store_b16 v32, v19
.LBB0_29:
	s_wait_alu 0xfffe
	s_and_not1_saveexec_b32 s1, s2
	s_cbranch_execz .LBB0_31
; %bb.30:
	v_mov_b32_e32 v1, 0
	v_add_f16_e32 v16, v12, v5
	v_sub_f16_e32 v14, v5, v12
	ds_load_u16 v15, v1 offset:1682
	s_wait_dscnt 0x0
	v_xor_b32_e32 v5, 0x8000, v15
	v_mov_b32_e32 v15, 0
	ds_store_b16 v32, v16
	ds_store_b16 v1, v5 offset:1682
.LBB0_31:
	s_wait_alu 0xfffe
	s_or_b32 exec_lo, exec_lo, s1
	v_mov_b32_e32 v5, 0
	v_perm_b32 v14, v15, v14, 0x5040100
	s_delay_alu instid0(VALU_DEP_2) | instskip(SKIP_1) | instid1(VALU_DEP_1)
	v_lshlrev_b64_e32 v[16:17], 2, v[4:5]
	v_mov_b32_e32 v12, v5
	v_lshlrev_b64_e32 v[11:12], 2, v[11:12]
	s_delay_alu instid0(VALU_DEP_3) | instskip(SKIP_1) | instid1(VALU_DEP_4)
	v_add_co_u32 v16, s1, s4, v16
	s_wait_alu 0xf1ff
	v_add_co_ci_u32_e64 v17, s1, s5, v17, s1
	s_delay_alu instid0(VALU_DEP_3)
	v_add_co_u32 v11, s1, s4, v11
	global_load_b32 v4, v[16:17], off offset:3352
	s_wait_alu 0xf1ff
	v_add_co_ci_u32_e64 v12, s1, s5, v12, s1
	global_load_b32 v12, v[11:12], off offset:3352
	v_mov_b32_e32 v11, v5
	s_delay_alu instid0(VALU_DEP_1) | instskip(NEXT) | instid1(VALU_DEP_1)
	v_lshlrev_b64_e32 v[10:11], 2, v[10:11]
	v_add_co_u32 v10, s1, s4, v10
	s_wait_alu 0xf1ff
	s_delay_alu instid0(VALU_DEP_2) | instskip(SKIP_2) | instid1(VALU_DEP_1)
	v_add_co_ci_u32_e64 v11, s1, s5, v11, s1
	global_load_b32 v11, v[10:11], off offset:3352
	v_mov_b32_e32 v10, v5
	v_lshlrev_b64_e32 v[9:10], 2, v[9:10]
	s_delay_alu instid0(VALU_DEP_1) | instskip(SKIP_1) | instid1(VALU_DEP_2)
	v_add_co_u32 v9, s1, s4, v9
	s_wait_alu 0xf1ff
	v_add_co_ci_u32_e64 v10, s1, s5, v10, s1
	global_load_b32 v10, v[9:10], off offset:3352
	v_mov_b32_e32 v9, v5
	s_delay_alu instid0(VALU_DEP_1) | instskip(NEXT) | instid1(VALU_DEP_1)
	v_lshlrev_b64_e32 v[8:9], 2, v[8:9]
	v_add_co_u32 v8, s1, s4, v8
	s_wait_alu 0xf1ff
	s_delay_alu instid0(VALU_DEP_2)
	v_add_co_ci_u32_e64 v9, s1, s5, v9, s1
	global_load_b32 v9, v[8:9], off offset:3352
	v_mov_b32_e32 v8, v5
	ds_store_b16 v32, v1 offset:2
	ds_store_b32 v13, v14 offset:3360
	ds_load_b32 v1, v39
	ds_load_b32 v14, v13 offset:3136
	v_lshlrev_b64_e32 v[7:8], 2, v[7:8]
	s_delay_alu instid0(VALU_DEP_1) | instskip(SKIP_1) | instid1(VALU_DEP_2)
	v_add_co_u32 v7, s1, s4, v7
	s_wait_alu 0xf1ff
	v_add_co_ci_u32_e64 v8, s1, s5, v8, s1
	global_load_b32 v7, v[7:8], off offset:3352
	s_wait_dscnt 0x0
	v_pk_add_f16 v8, v1, v14 neg_lo:[0,1] neg_hi:[0,1]
	v_pk_add_f16 v1, v1, v14
	s_delay_alu instid0(VALU_DEP_1) | instskip(SKIP_1) | instid1(VALU_DEP_2)
	v_bfi_b32 v14, 0xffff, v8, v1
	v_bfi_b32 v1, 0xffff, v1, v8
	v_pk_mul_f16 v8, v14, 0.5 op_sel_hi:[1,0]
	s_delay_alu instid0(VALU_DEP_2) | instskip(SKIP_1) | instid1(VALU_DEP_1)
	v_pk_mul_f16 v1, v1, 0.5 op_sel_hi:[1,0]
	s_wait_loadcnt 0x5
	v_pk_fma_f16 v14, v4, v8, v1 op_sel:[1,0,0]
	v_pk_mul_f16 v15, v4, v8 op_sel_hi:[0,1]
	v_pk_fma_f16 v16, v4, v8, v1 op_sel:[1,0,0] neg_lo:[1,0,0] neg_hi:[1,0,0]
	v_pk_fma_f16 v1, v4, v8, v1 op_sel:[1,0,0] neg_lo:[0,0,1] neg_hi:[0,0,1]
	s_delay_alu instid0(VALU_DEP_3) | instskip(SKIP_1) | instid1(VALU_DEP_4)
	v_pk_add_f16 v4, v14, v15 op_sel:[0,1] op_sel_hi:[1,0]
	v_pk_add_f16 v8, v14, v15 op_sel:[0,1] op_sel_hi:[1,0] neg_lo:[0,1] neg_hi:[0,1]
	v_pk_add_f16 v14, v16, v15 op_sel:[0,1] op_sel_hi:[1,0] neg_lo:[0,1] neg_hi:[0,1]
	s_delay_alu instid0(VALU_DEP_4) | instskip(NEXT) | instid1(VALU_DEP_3)
	v_pk_add_f16 v1, v1, v15 op_sel:[0,1] op_sel_hi:[1,0] neg_lo:[0,1] neg_hi:[0,1]
	v_bfi_b32 v4, 0xffff, v4, v8
	s_delay_alu instid0(VALU_DEP_2)
	v_bfi_b32 v1, 0xffff, v14, v1
	ds_store_b32 v39, v4
	ds_store_b32 v13, v1 offset:3136
	ds_load_b32 v1, v38
	ds_load_b32 v4, v13 offset:2912
	s_wait_dscnt 0x0
	v_pk_add_f16 v8, v1, v4 neg_lo:[0,1] neg_hi:[0,1]
	v_pk_add_f16 v1, v1, v4
	s_delay_alu instid0(VALU_DEP_1) | instskip(SKIP_1) | instid1(VALU_DEP_2)
	v_bfi_b32 v4, 0xffff, v8, v1
	v_bfi_b32 v1, 0xffff, v1, v8
	v_pk_mul_f16 v4, v4, 0.5 op_sel_hi:[1,0]
	s_delay_alu instid0(VALU_DEP_2) | instskip(SKIP_1) | instid1(VALU_DEP_2)
	v_pk_mul_f16 v1, v1, 0.5 op_sel_hi:[1,0]
	s_wait_loadcnt 0x4
	v_pk_mul_f16 v14, v12, v4 op_sel_hi:[0,1]
	s_delay_alu instid0(VALU_DEP_2) | instskip(SKIP_2) | instid1(VALU_DEP_3)
	v_pk_fma_f16 v8, v12, v4, v1 op_sel:[1,0,0]
	v_pk_fma_f16 v15, v12, v4, v1 op_sel:[1,0,0] neg_lo:[1,0,0] neg_hi:[1,0,0]
	v_pk_fma_f16 v1, v12, v4, v1 op_sel:[1,0,0] neg_lo:[0,0,1] neg_hi:[0,0,1]
	v_pk_add_f16 v4, v8, v14 op_sel:[0,1] op_sel_hi:[1,0]
	v_pk_add_f16 v8, v8, v14 op_sel:[0,1] op_sel_hi:[1,0] neg_lo:[0,1] neg_hi:[0,1]
	s_delay_alu instid0(VALU_DEP_4) | instskip(NEXT) | instid1(VALU_DEP_4)
	v_pk_add_f16 v12, v15, v14 op_sel:[0,1] op_sel_hi:[1,0] neg_lo:[0,1] neg_hi:[0,1]
	v_pk_add_f16 v1, v1, v14 op_sel:[0,1] op_sel_hi:[1,0] neg_lo:[0,1] neg_hi:[0,1]
	s_delay_alu instid0(VALU_DEP_3) | instskip(NEXT) | instid1(VALU_DEP_2)
	v_bfi_b32 v4, 0xffff, v4, v8
	v_bfi_b32 v1, 0xffff, v12, v1
	ds_store_b32 v38, v4
	ds_store_b32 v13, v1 offset:2912
	ds_load_b32 v1, v37
	ds_load_b32 v4, v13 offset:2688
	s_wait_dscnt 0x0
	v_pk_add_f16 v8, v1, v4 neg_lo:[0,1] neg_hi:[0,1]
	v_pk_add_f16 v1, v1, v4
	s_delay_alu instid0(VALU_DEP_1) | instskip(SKIP_1) | instid1(VALU_DEP_2)
	v_bfi_b32 v4, 0xffff, v8, v1
	v_bfi_b32 v1, 0xffff, v1, v8
	v_pk_mul_f16 v4, v4, 0.5 op_sel_hi:[1,0]
	s_delay_alu instid0(VALU_DEP_2) | instskip(SKIP_1) | instid1(VALU_DEP_2)
	v_pk_mul_f16 v1, v1, 0.5 op_sel_hi:[1,0]
	s_wait_loadcnt 0x3
	v_pk_mul_f16 v12, v11, v4 op_sel_hi:[0,1]
	s_delay_alu instid0(VALU_DEP_2) | instskip(SKIP_2) | instid1(VALU_DEP_3)
	v_pk_fma_f16 v8, v11, v4, v1 op_sel:[1,0,0]
	v_pk_fma_f16 v14, v11, v4, v1 op_sel:[1,0,0] neg_lo:[1,0,0] neg_hi:[1,0,0]
	v_pk_fma_f16 v1, v11, v4, v1 op_sel:[1,0,0] neg_lo:[0,0,1] neg_hi:[0,0,1]
	v_pk_add_f16 v4, v8, v12 op_sel:[0,1] op_sel_hi:[1,0]
	v_pk_add_f16 v8, v8, v12 op_sel:[0,1] op_sel_hi:[1,0] neg_lo:[0,1] neg_hi:[0,1]
	s_delay_alu instid0(VALU_DEP_4) | instskip(NEXT) | instid1(VALU_DEP_4)
	v_pk_add_f16 v11, v14, v12 op_sel:[0,1] op_sel_hi:[1,0] neg_lo:[0,1] neg_hi:[0,1]
	v_pk_add_f16 v1, v1, v12 op_sel:[0,1] op_sel_hi:[1,0] neg_lo:[0,1] neg_hi:[0,1]
	s_delay_alu instid0(VALU_DEP_3) | instskip(NEXT) | instid1(VALU_DEP_2)
	v_bfi_b32 v4, 0xffff, v4, v8
	;; [unrolled: 27-line block ×5, first 2 shown]
	v_bfi_b32 v1, 0xffff, v8, v1
	ds_store_b32 v34, v4
	ds_store_b32 v13, v1 offset:2016
	s_and_saveexec_b32 s1, s0
	s_cbranch_execz .LBB0_33
; %bb.32:
	v_mov_b32_e32 v7, v5
	s_delay_alu instid0(VALU_DEP_1) | instskip(NEXT) | instid1(VALU_DEP_1)
	v_lshlrev_b64_e32 v[4:5], 2, v[6:7]
	v_add_co_u32 v4, s0, s4, v4
	s_wait_alu 0xf1ff
	s_delay_alu instid0(VALU_DEP_2)
	v_add_co_ci_u32_e64 v5, s0, s5, v5, s0
	global_load_b32 v1, v[4:5], off offset:3352
	ds_load_b32 v4, v33
	ds_load_b32 v5, v13 offset:1792
	s_wait_dscnt 0x0
	v_pk_add_f16 v6, v4, v5 neg_lo:[0,1] neg_hi:[0,1]
	v_pk_add_f16 v4, v4, v5
	s_delay_alu instid0(VALU_DEP_1) | instskip(SKIP_1) | instid1(VALU_DEP_2)
	v_bfi_b32 v5, 0xffff, v6, v4
	v_bfi_b32 v4, 0xffff, v4, v6
	v_pk_mul_f16 v5, v5, 0.5 op_sel_hi:[1,0]
	s_delay_alu instid0(VALU_DEP_2) | instskip(SKIP_1) | instid1(VALU_DEP_1)
	v_pk_mul_f16 v4, v4, 0.5 op_sel_hi:[1,0]
	s_wait_loadcnt 0x0
	v_pk_fma_f16 v6, v1, v5, v4 op_sel:[1,0,0]
	v_pk_mul_f16 v7, v1, v5 op_sel_hi:[0,1]
	v_pk_fma_f16 v8, v1, v5, v4 op_sel:[1,0,0] neg_lo:[1,0,0] neg_hi:[1,0,0]
	v_pk_fma_f16 v1, v1, v5, v4 op_sel:[1,0,0] neg_lo:[0,0,1] neg_hi:[0,0,1]
	s_delay_alu instid0(VALU_DEP_3) | instskip(SKIP_1) | instid1(VALU_DEP_4)
	v_pk_add_f16 v4, v6, v7 op_sel:[0,1] op_sel_hi:[1,0]
	v_pk_add_f16 v5, v6, v7 op_sel:[0,1] op_sel_hi:[1,0] neg_lo:[0,1] neg_hi:[0,1]
	v_pk_add_f16 v6, v8, v7 op_sel:[0,1] op_sel_hi:[1,0] neg_lo:[0,1] neg_hi:[0,1]
	s_delay_alu instid0(VALU_DEP_4) | instskip(NEXT) | instid1(VALU_DEP_3)
	v_pk_add_f16 v1, v1, v7 op_sel:[0,1] op_sel_hi:[1,0] neg_lo:[0,1] neg_hi:[0,1]
	v_bfi_b32 v4, 0xffff, v4, v5
	s_delay_alu instid0(VALU_DEP_2)
	v_bfi_b32 v1, 0xffff, v6, v1
	ds_store_b32 v33, v4
	ds_store_b32 v13, v1 offset:1792
.LBB0_33:
	s_wait_alu 0xfffe
	s_or_b32 exec_lo, exec_lo, s1
	global_wb scope:SCOPE_SE
	s_wait_dscnt 0x0
	s_barrier_signal -1
	s_barrier_wait -1
	global_inv scope:SCOPE_SE
	s_and_saveexec_b32 s0, vcc_lo
	s_cbranch_execz .LBB0_36
; %bb.34:
	v_dual_mov_b32 v1, 0 :: v_dual_add_nc_u32 v8, 0x200, v32
	v_add_nc_u32_e32 v14, 0x400, v32
	v_add_nc_u32_e32 v18, 0x800, v32
	ds_load_2addr_b32 v[4:5], v32 offset1:56
	ds_load_2addr_b32 v[6:7], v32 offset0:112 offset1:168
	ds_load_2addr_b32 v[8:9], v8 offset0:96 offset1:152
	v_lshlrev_b64_e32 v[12:13], 2, v[0:1]
	ds_load_2addr_b32 v[10:11], v14 offset0:80 offset1:136
	ds_load_2addr_b32 v[14:15], v14 offset0:192 offset1:248
	;; [unrolled: 1-line block ×4, first 2 shown]
	ds_load_b32 v20, v32 offset:3136
	v_add_co_u32 v2, vcc_lo, s8, v2
	s_wait_alu 0xfffd
	v_add_co_ci_u32_e32 v3, vcc_lo, s9, v3, vcc_lo
	s_delay_alu instid0(VALU_DEP_2) | instskip(SKIP_1) | instid1(VALU_DEP_2)
	v_add_co_u32 v12, vcc_lo, v2, v12
	s_wait_alu 0xfffd
	v_add_co_ci_u32_e32 v13, vcc_lo, v3, v13, vcc_lo
	v_cmp_eq_u32_e32 vcc_lo, 55, v0
	s_wait_dscnt 0x7
	s_clause 0x1
	global_store_b32 v[12:13], v4, off
	global_store_b32 v[12:13], v5, off offset:224
	s_wait_dscnt 0x6
	s_clause 0x1
	global_store_b32 v[12:13], v6, off offset:448
	global_store_b32 v[12:13], v7, off offset:672
	s_wait_dscnt 0x5
	s_clause 0x1
	global_store_b32 v[12:13], v8, off offset:896
	;; [unrolled: 4-line block ×6, first 2 shown]
	global_store_b32 v[12:13], v19, off offset:2912
	s_wait_dscnt 0x0
	global_store_b32 v[12:13], v20, off offset:3136
	s_and_b32 exec_lo, exec_lo, vcc_lo
	s_cbranch_execz .LBB0_36
; %bb.35:
	ds_load_b32 v0, v1 offset:3360
	s_wait_dscnt 0x0
	global_store_b32 v[2:3], v0, off offset:3360
.LBB0_36:
	s_nop 0
	s_sendmsg sendmsg(MSG_DEALLOC_VGPRS)
	s_endpgm
	.section	.rodata,"a",@progbits
	.p2align	6, 0x0
	.amdhsa_kernel fft_rtc_fwd_len840_factors_2_2_2_3_5_7_wgs_56_tpt_56_halfLds_half_ip_CI_unitstride_sbrr_R2C_dirReg
		.amdhsa_group_segment_fixed_size 0
		.amdhsa_private_segment_fixed_size 0
		.amdhsa_kernarg_size 88
		.amdhsa_user_sgpr_count 2
		.amdhsa_user_sgpr_dispatch_ptr 0
		.amdhsa_user_sgpr_queue_ptr 0
		.amdhsa_user_sgpr_kernarg_segment_ptr 1
		.amdhsa_user_sgpr_dispatch_id 0
		.amdhsa_user_sgpr_private_segment_size 0
		.amdhsa_wavefront_size32 1
		.amdhsa_uses_dynamic_stack 0
		.amdhsa_enable_private_segment 0
		.amdhsa_system_sgpr_workgroup_id_x 1
		.amdhsa_system_sgpr_workgroup_id_y 0
		.amdhsa_system_sgpr_workgroup_id_z 0
		.amdhsa_system_sgpr_workgroup_info 0
		.amdhsa_system_vgpr_workitem_id 0
		.amdhsa_next_free_vgpr 106
		.amdhsa_next_free_sgpr 32
		.amdhsa_reserve_vcc 1
		.amdhsa_float_round_mode_32 0
		.amdhsa_float_round_mode_16_64 0
		.amdhsa_float_denorm_mode_32 3
		.amdhsa_float_denorm_mode_16_64 3
		.amdhsa_fp16_overflow 0
		.amdhsa_workgroup_processor_mode 1
		.amdhsa_memory_ordered 1
		.amdhsa_forward_progress 0
		.amdhsa_round_robin_scheduling 0
		.amdhsa_exception_fp_ieee_invalid_op 0
		.amdhsa_exception_fp_denorm_src 0
		.amdhsa_exception_fp_ieee_div_zero 0
		.amdhsa_exception_fp_ieee_overflow 0
		.amdhsa_exception_fp_ieee_underflow 0
		.amdhsa_exception_fp_ieee_inexact 0
		.amdhsa_exception_int_div_zero 0
	.end_amdhsa_kernel
	.text
.Lfunc_end0:
	.size	fft_rtc_fwd_len840_factors_2_2_2_3_5_7_wgs_56_tpt_56_halfLds_half_ip_CI_unitstride_sbrr_R2C_dirReg, .Lfunc_end0-fft_rtc_fwd_len840_factors_2_2_2_3_5_7_wgs_56_tpt_56_halfLds_half_ip_CI_unitstride_sbrr_R2C_dirReg
                                        ; -- End function
	.section	.AMDGPU.csdata,"",@progbits
; Kernel info:
; codeLenInByte = 12624
; NumSgprs: 34
; NumVgprs: 106
; ScratchSize: 0
; MemoryBound: 0
; FloatMode: 240
; IeeeMode: 1
; LDSByteSize: 0 bytes/workgroup (compile time only)
; SGPRBlocks: 4
; VGPRBlocks: 13
; NumSGPRsForWavesPerEU: 34
; NumVGPRsForWavesPerEU: 106
; Occupancy: 12
; WaveLimiterHint : 1
; COMPUTE_PGM_RSRC2:SCRATCH_EN: 0
; COMPUTE_PGM_RSRC2:USER_SGPR: 2
; COMPUTE_PGM_RSRC2:TRAP_HANDLER: 0
; COMPUTE_PGM_RSRC2:TGID_X_EN: 1
; COMPUTE_PGM_RSRC2:TGID_Y_EN: 0
; COMPUTE_PGM_RSRC2:TGID_Z_EN: 0
; COMPUTE_PGM_RSRC2:TIDIG_COMP_CNT: 0
	.text
	.p2alignl 7, 3214868480
	.fill 96, 4, 3214868480
	.type	__hip_cuid_6abfd9deaa5dfd00,@object ; @__hip_cuid_6abfd9deaa5dfd00
	.section	.bss,"aw",@nobits
	.globl	__hip_cuid_6abfd9deaa5dfd00
__hip_cuid_6abfd9deaa5dfd00:
	.byte	0                               ; 0x0
	.size	__hip_cuid_6abfd9deaa5dfd00, 1

	.ident	"AMD clang version 19.0.0git (https://github.com/RadeonOpenCompute/llvm-project roc-6.4.0 25133 c7fe45cf4b819c5991fe208aaa96edf142730f1d)"
	.section	".note.GNU-stack","",@progbits
	.addrsig
	.addrsig_sym __hip_cuid_6abfd9deaa5dfd00
	.amdgpu_metadata
---
amdhsa.kernels:
  - .args:
      - .actual_access:  read_only
        .address_space:  global
        .offset:         0
        .size:           8
        .value_kind:     global_buffer
      - .offset:         8
        .size:           8
        .value_kind:     by_value
      - .actual_access:  read_only
        .address_space:  global
        .offset:         16
        .size:           8
        .value_kind:     global_buffer
      - .actual_access:  read_only
        .address_space:  global
        .offset:         24
        .size:           8
        .value_kind:     global_buffer
      - .offset:         32
        .size:           8
        .value_kind:     by_value
      - .actual_access:  read_only
        .address_space:  global
        .offset:         40
        .size:           8
        .value_kind:     global_buffer
      - .actual_access:  read_only
        .address_space:  global
        .offset:         48
        .size:           8
        .value_kind:     global_buffer
      - .offset:         56
        .size:           4
        .value_kind:     by_value
      - .actual_access:  read_only
        .address_space:  global
        .offset:         64
        .size:           8
        .value_kind:     global_buffer
      - .actual_access:  read_only
        .address_space:  global
        .offset:         72
        .size:           8
        .value_kind:     global_buffer
      - .address_space:  global
        .offset:         80
        .size:           8
        .value_kind:     global_buffer
    .group_segment_fixed_size: 0
    .kernarg_segment_align: 8
    .kernarg_segment_size: 88
    .language:       OpenCL C
    .language_version:
      - 2
      - 0
    .max_flat_workgroup_size: 56
    .name:           fft_rtc_fwd_len840_factors_2_2_2_3_5_7_wgs_56_tpt_56_halfLds_half_ip_CI_unitstride_sbrr_R2C_dirReg
    .private_segment_fixed_size: 0
    .sgpr_count:     34
    .sgpr_spill_count: 0
    .symbol:         fft_rtc_fwd_len840_factors_2_2_2_3_5_7_wgs_56_tpt_56_halfLds_half_ip_CI_unitstride_sbrr_R2C_dirReg.kd
    .uniform_work_group_size: 1
    .uses_dynamic_stack: false
    .vgpr_count:     106
    .vgpr_spill_count: 0
    .wavefront_size: 32
    .workgroup_processor_mode: 1
amdhsa.target:   amdgcn-amd-amdhsa--gfx1201
amdhsa.version:
  - 1
  - 2
...

	.end_amdgpu_metadata
